;; amdgpu-corpus repo=ROCm/rocFFT kind=compiled arch=gfx1201 opt=O3
	.text
	.amdgcn_target "amdgcn-amd-amdhsa--gfx1201"
	.amdhsa_code_object_version 6
	.protected	fft_rtc_fwd_len150_factors_10_5_3_wgs_60_tpt_5_halfLds_sp_ip_CI_sbrr_dirReg ; -- Begin function fft_rtc_fwd_len150_factors_10_5_3_wgs_60_tpt_5_halfLds_sp_ip_CI_sbrr_dirReg
	.globl	fft_rtc_fwd_len150_factors_10_5_3_wgs_60_tpt_5_halfLds_sp_ip_CI_sbrr_dirReg
	.p2align	8
	.type	fft_rtc_fwd_len150_factors_10_5_3_wgs_60_tpt_5_halfLds_sp_ip_CI_sbrr_dirReg,@function
fft_rtc_fwd_len150_factors_10_5_3_wgs_60_tpt_5_halfLds_sp_ip_CI_sbrr_dirReg: ; @fft_rtc_fwd_len150_factors_10_5_3_wgs_60_tpt_5_halfLds_sp_ip_CI_sbrr_dirReg
; %bb.0:
	s_clause 0x1
	s_load_b64 s[12:13], s[0:1], 0x18
	s_load_b128 s[4:7], s[0:1], 0x0
	v_mul_u32_u24_e32 v1, 0x3334, v0
	v_mov_b32_e32 v5, 0
	s_load_b64 s[10:11], s[0:1], 0x50
	s_wait_kmcnt 0x0
	s_load_b64 s[8:9], s[12:13], 0x0
	v_lshrrev_b32_e32 v1, 16, v1
	v_cmp_lt_u64_e64 s2, s[6:7], 2
	s_delay_alu instid0(VALU_DEP_2) | instskip(SKIP_4) | instid1(VALU_DEP_1)
	v_mad_co_u64_u32 v[1:2], null, ttmp9, 12, v[1:2]
	v_mov_b32_e32 v3, 0
	v_mov_b32_e32 v4, 0
	;; [unrolled: 1-line block ×3, first 2 shown]
	s_and_b32 vcc_lo, exec_lo, s2
	v_dual_mov_b32 v10, v2 :: v_dual_mov_b32 v9, v1
	s_cbranch_vccnz .LBB0_8
; %bb.1:
	s_load_b64 s[2:3], s[0:1], 0x10
	v_dual_mov_b32 v3, 0 :: v_dual_mov_b32 v8, v2
	v_dual_mov_b32 v4, 0 :: v_dual_mov_b32 v7, v1
	s_add_nc_u64 s[14:15], s[12:13], 8
	s_mov_b64 s[16:17], 1
	s_wait_kmcnt 0x0
	s_add_nc_u64 s[18:19], s[2:3], 8
	s_mov_b32 s3, 0
.LBB0_2:                                ; =>This Inner Loop Header: Depth=1
	s_load_b64 s[20:21], s[18:19], 0x0
                                        ; implicit-def: $vgpr9_vgpr10
	s_mov_b32 s2, exec_lo
	s_wait_kmcnt 0x0
	v_or_b32_e32 v6, s21, v8
	s_delay_alu instid0(VALU_DEP_1)
	v_cmpx_ne_u64_e32 0, v[5:6]
	s_wait_alu 0xfffe
	s_xor_b32 s22, exec_lo, s2
	s_cbranch_execz .LBB0_4
; %bb.3:                                ;   in Loop: Header=BB0_2 Depth=1
	s_cvt_f32_u32 s2, s20
	s_cvt_f32_u32 s23, s21
	s_sub_nc_u64 s[26:27], 0, s[20:21]
	s_wait_alu 0xfffe
	s_delay_alu instid0(SALU_CYCLE_1) | instskip(SKIP_1) | instid1(SALU_CYCLE_2)
	s_fmamk_f32 s2, s23, 0x4f800000, s2
	s_wait_alu 0xfffe
	v_s_rcp_f32 s2, s2
	s_delay_alu instid0(TRANS32_DEP_1) | instskip(SKIP_1) | instid1(SALU_CYCLE_2)
	s_mul_f32 s2, s2, 0x5f7ffffc
	s_wait_alu 0xfffe
	s_mul_f32 s23, s2, 0x2f800000
	s_wait_alu 0xfffe
	s_delay_alu instid0(SALU_CYCLE_2) | instskip(SKIP_1) | instid1(SALU_CYCLE_2)
	s_trunc_f32 s23, s23
	s_wait_alu 0xfffe
	s_fmamk_f32 s2, s23, 0xcf800000, s2
	s_cvt_u32_f32 s25, s23
	s_wait_alu 0xfffe
	s_delay_alu instid0(SALU_CYCLE_1) | instskip(SKIP_1) | instid1(SALU_CYCLE_2)
	s_cvt_u32_f32 s24, s2
	s_wait_alu 0xfffe
	s_mul_u64 s[28:29], s[26:27], s[24:25]
	s_wait_alu 0xfffe
	s_mul_hi_u32 s31, s24, s29
	s_mul_i32 s30, s24, s29
	s_mul_hi_u32 s2, s24, s28
	s_mul_i32 s33, s25, s28
	s_wait_alu 0xfffe
	s_add_nc_u64 s[30:31], s[2:3], s[30:31]
	s_mul_hi_u32 s23, s25, s28
	s_mul_hi_u32 s34, s25, s29
	s_add_co_u32 s2, s30, s33
	s_wait_alu 0xfffe
	s_add_co_ci_u32 s2, s31, s23
	s_mul_i32 s28, s25, s29
	s_add_co_ci_u32 s29, s34, 0
	s_wait_alu 0xfffe
	s_add_nc_u64 s[28:29], s[2:3], s[28:29]
	s_wait_alu 0xfffe
	v_add_co_u32 v2, s2, s24, s28
	s_delay_alu instid0(VALU_DEP_1) | instskip(SKIP_1) | instid1(VALU_DEP_1)
	s_cmp_lg_u32 s2, 0
	s_add_co_ci_u32 s25, s25, s29
	v_readfirstlane_b32 s24, v2
	s_wait_alu 0xfffe
	s_delay_alu instid0(VALU_DEP_1)
	s_mul_u64 s[26:27], s[26:27], s[24:25]
	s_wait_alu 0xfffe
	s_mul_hi_u32 s29, s24, s27
	s_mul_i32 s28, s24, s27
	s_mul_hi_u32 s2, s24, s26
	s_mul_i32 s30, s25, s26
	s_wait_alu 0xfffe
	s_add_nc_u64 s[28:29], s[2:3], s[28:29]
	s_mul_hi_u32 s23, s25, s26
	s_mul_hi_u32 s24, s25, s27
	s_wait_alu 0xfffe
	s_add_co_u32 s2, s28, s30
	s_add_co_ci_u32 s2, s29, s23
	s_mul_i32 s26, s25, s27
	s_add_co_ci_u32 s27, s24, 0
	s_wait_alu 0xfffe
	s_add_nc_u64 s[26:27], s[2:3], s[26:27]
	s_wait_alu 0xfffe
	v_add_co_u32 v2, s2, v2, s26
	s_delay_alu instid0(VALU_DEP_1) | instskip(SKIP_1) | instid1(VALU_DEP_1)
	s_cmp_lg_u32 s2, 0
	s_add_co_ci_u32 s2, s25, s27
	v_mul_hi_u32 v6, v7, v2
	s_wait_alu 0xfffe
	v_mad_co_u64_u32 v[9:10], null, v7, s2, 0
	v_mad_co_u64_u32 v[11:12], null, v8, v2, 0
	;; [unrolled: 1-line block ×3, first 2 shown]
	s_delay_alu instid0(VALU_DEP_3) | instskip(SKIP_1) | instid1(VALU_DEP_4)
	v_add_co_u32 v2, vcc_lo, v6, v9
	s_wait_alu 0xfffd
	v_add_co_ci_u32_e32 v6, vcc_lo, 0, v10, vcc_lo
	s_delay_alu instid0(VALU_DEP_2) | instskip(SKIP_1) | instid1(VALU_DEP_2)
	v_add_co_u32 v2, vcc_lo, v2, v11
	s_wait_alu 0xfffd
	v_add_co_ci_u32_e32 v2, vcc_lo, v6, v12, vcc_lo
	s_wait_alu 0xfffd
	v_add_co_ci_u32_e32 v6, vcc_lo, 0, v14, vcc_lo
	s_delay_alu instid0(VALU_DEP_2) | instskip(SKIP_1) | instid1(VALU_DEP_2)
	v_add_co_u32 v2, vcc_lo, v2, v13
	s_wait_alu 0xfffd
	v_add_co_ci_u32_e32 v6, vcc_lo, 0, v6, vcc_lo
	s_delay_alu instid0(VALU_DEP_2) | instskip(SKIP_1) | instid1(VALU_DEP_3)
	v_mul_lo_u32 v11, s21, v2
	v_mad_co_u64_u32 v[9:10], null, s20, v2, 0
	v_mul_lo_u32 v12, s20, v6
	s_delay_alu instid0(VALU_DEP_2) | instskip(NEXT) | instid1(VALU_DEP_2)
	v_sub_co_u32 v9, vcc_lo, v7, v9
	v_add3_u32 v10, v10, v12, v11
	s_delay_alu instid0(VALU_DEP_1) | instskip(SKIP_1) | instid1(VALU_DEP_1)
	v_sub_nc_u32_e32 v11, v8, v10
	s_wait_alu 0xfffd
	v_subrev_co_ci_u32_e64 v11, s2, s21, v11, vcc_lo
	v_add_co_u32 v12, s2, v2, 2
	s_wait_alu 0xf1ff
	v_add_co_ci_u32_e64 v13, s2, 0, v6, s2
	v_sub_co_u32 v14, s2, v9, s20
	v_sub_co_ci_u32_e32 v10, vcc_lo, v8, v10, vcc_lo
	s_wait_alu 0xf1ff
	v_subrev_co_ci_u32_e64 v11, s2, 0, v11, s2
	s_delay_alu instid0(VALU_DEP_3) | instskip(NEXT) | instid1(VALU_DEP_3)
	v_cmp_le_u32_e32 vcc_lo, s20, v14
	v_cmp_eq_u32_e64 s2, s21, v10
	s_wait_alu 0xfffd
	v_cndmask_b32_e64 v14, 0, -1, vcc_lo
	v_cmp_le_u32_e32 vcc_lo, s21, v11
	s_wait_alu 0xfffd
	v_cndmask_b32_e64 v15, 0, -1, vcc_lo
	v_cmp_le_u32_e32 vcc_lo, s20, v9
	;; [unrolled: 3-line block ×3, first 2 shown]
	s_wait_alu 0xfffd
	v_cndmask_b32_e64 v16, 0, -1, vcc_lo
	v_cmp_eq_u32_e32 vcc_lo, s21, v11
	s_wait_alu 0xf1ff
	s_delay_alu instid0(VALU_DEP_2)
	v_cndmask_b32_e64 v9, v16, v9, s2
	s_wait_alu 0xfffd
	v_cndmask_b32_e32 v11, v15, v14, vcc_lo
	v_add_co_u32 v14, vcc_lo, v2, 1
	s_wait_alu 0xfffd
	v_add_co_ci_u32_e32 v15, vcc_lo, 0, v6, vcc_lo
	s_delay_alu instid0(VALU_DEP_3) | instskip(SKIP_1) | instid1(VALU_DEP_2)
	v_cmp_ne_u32_e32 vcc_lo, 0, v11
	s_wait_alu 0xfffd
	v_dual_cndmask_b32 v10, v15, v13 :: v_dual_cndmask_b32 v11, v14, v12
	v_cmp_ne_u32_e32 vcc_lo, 0, v9
	s_wait_alu 0xfffd
	s_delay_alu instid0(VALU_DEP_2) | instskip(NEXT) | instid1(VALU_DEP_3)
	v_cndmask_b32_e32 v10, v6, v10, vcc_lo
	v_cndmask_b32_e32 v9, v2, v11, vcc_lo
.LBB0_4:                                ;   in Loop: Header=BB0_2 Depth=1
	s_wait_alu 0xfffe
	s_and_not1_saveexec_b32 s2, s22
	s_cbranch_execz .LBB0_6
; %bb.5:                                ;   in Loop: Header=BB0_2 Depth=1
	v_cvt_f32_u32_e32 v2, s20
	s_sub_co_i32 s22, 0, s20
	s_delay_alu instid0(VALU_DEP_1) | instskip(NEXT) | instid1(TRANS32_DEP_1)
	v_rcp_iflag_f32_e32 v2, v2
	v_mul_f32_e32 v2, 0x4f7ffffe, v2
	s_delay_alu instid0(VALU_DEP_1) | instskip(SKIP_1) | instid1(VALU_DEP_1)
	v_cvt_u32_f32_e32 v2, v2
	s_wait_alu 0xfffe
	v_mul_lo_u32 v6, s22, v2
	s_delay_alu instid0(VALU_DEP_1) | instskip(NEXT) | instid1(VALU_DEP_1)
	v_mul_hi_u32 v6, v2, v6
	v_add_nc_u32_e32 v2, v2, v6
	s_delay_alu instid0(VALU_DEP_1) | instskip(NEXT) | instid1(VALU_DEP_1)
	v_mul_hi_u32 v2, v7, v2
	v_mul_lo_u32 v6, v2, s20
	v_add_nc_u32_e32 v9, 1, v2
	s_delay_alu instid0(VALU_DEP_2) | instskip(NEXT) | instid1(VALU_DEP_1)
	v_sub_nc_u32_e32 v6, v7, v6
	v_subrev_nc_u32_e32 v10, s20, v6
	v_cmp_le_u32_e32 vcc_lo, s20, v6
	s_wait_alu 0xfffd
	s_delay_alu instid0(VALU_DEP_2) | instskip(SKIP_2) | instid1(VALU_DEP_3)
	v_cndmask_b32_e32 v6, v6, v10, vcc_lo
	v_mov_b32_e32 v10, v5
	v_cndmask_b32_e32 v2, v2, v9, vcc_lo
	v_cmp_le_u32_e32 vcc_lo, s20, v6
	s_delay_alu instid0(VALU_DEP_2) | instskip(SKIP_1) | instid1(VALU_DEP_1)
	v_add_nc_u32_e32 v9, 1, v2
	s_wait_alu 0xfffd
	v_cndmask_b32_e32 v9, v2, v9, vcc_lo
.LBB0_6:                                ;   in Loop: Header=BB0_2 Depth=1
	s_wait_alu 0xfffe
	s_or_b32 exec_lo, exec_lo, s2
	s_load_b64 s[22:23], s[14:15], 0x0
	v_mul_lo_u32 v2, v10, s20
	v_mul_lo_u32 v6, v9, s21
	v_mad_co_u64_u32 v[11:12], null, v9, s20, 0
	s_add_nc_u64 s[16:17], s[16:17], 1
	s_add_nc_u64 s[14:15], s[14:15], 8
	s_wait_alu 0xfffe
	v_cmp_ge_u64_e64 s2, s[16:17], s[6:7]
	s_add_nc_u64 s[18:19], s[18:19], 8
	s_delay_alu instid0(VALU_DEP_2) | instskip(NEXT) | instid1(VALU_DEP_3)
	v_add3_u32 v2, v12, v6, v2
	v_sub_co_u32 v6, vcc_lo, v7, v11
	s_wait_alu 0xfffd
	s_delay_alu instid0(VALU_DEP_2) | instskip(SKIP_3) | instid1(VALU_DEP_2)
	v_sub_co_ci_u32_e32 v2, vcc_lo, v8, v2, vcc_lo
	s_and_b32 vcc_lo, exec_lo, s2
	s_wait_kmcnt 0x0
	v_mul_lo_u32 v7, s23, v6
	v_mul_lo_u32 v2, s22, v2
	v_mad_co_u64_u32 v[3:4], null, s22, v6, v[3:4]
	s_delay_alu instid0(VALU_DEP_1)
	v_add3_u32 v4, v7, v4, v2
	s_wait_alu 0xfffe
	s_cbranch_vccnz .LBB0_8
; %bb.7:                                ;   in Loop: Header=BB0_2 Depth=1
	v_dual_mov_b32 v7, v9 :: v_dual_mov_b32 v8, v10
	s_branch .LBB0_2
.LBB0_8:
	s_lshl_b64 s[2:3], s[6:7], 3
	v_mul_hi_u32 v2, 0x33333334, v0
	s_wait_alu 0xfffe
	s_add_nc_u64 s[2:3], s[12:13], s[2:3]
	s_load_b64 s[0:1], s[0:1], 0x20
	s_load_b64 s[2:3], s[2:3], 0x0
                                        ; implicit-def: $vgpr89
                                        ; implicit-def: $vgpr90
                                        ; implicit-def: $vgpr94
                                        ; implicit-def: $vgpr95
                                        ; implicit-def: $vgpr96
                                        ; implicit-def: $vgpr91
                                        ; implicit-def: $vgpr97
                                        ; implicit-def: $vgpr92
                                        ; implicit-def: $vgpr93
	s_delay_alu instid0(VALU_DEP_1) | instskip(NEXT) | instid1(VALU_DEP_1)
	v_mul_u32_u24_e32 v2, 5, v2
	v_sub_nc_u32_e32 v82, v0, v2
	s_delay_alu instid0(VALU_DEP_1)
	v_add_nc_u32_e32 v81, 5, v82
	v_add_nc_u32_e32 v80, 10, v82
	;; [unrolled: 1-line block ×4, first 2 shown]
	s_wait_kmcnt 0x0
	v_cmp_gt_u64_e32 vcc_lo, s[0:1], v[9:10]
	v_mul_lo_u32 v0, s2, v10
	v_mul_lo_u32 v5, s3, v9
	v_mad_co_u64_u32 v[2:3], null, s2, v9, v[3:4]
	v_cmp_le_u64_e64 s0, s[0:1], v[9:10]
	v_or_b32_e32 v65, 40, v82
	v_add_nc_u32_e32 v76, 15, v82
	v_add_nc_u32_e32 v64, 45, v82
	;; [unrolled: 1-line block ×4, first 2 shown]
	v_add3_u32 v3, v5, v3, v0
	v_or_b32_e32 v88, 0x50, v82
	s_and_saveexec_b32 s1, s0
	s_wait_alu 0xfffe
	s_xor_b32 s0, exec_lo, s1
; %bb.9:
	v_add_nc_u32_e32 v89, 5, v82
	v_add_nc_u32_e32 v90, 10, v82
	v_add_nc_u32_e32 v94, 30, v82
	v_add_nc_u32_e32 v95, 35, v82
	v_or_b32_e32 v96, 40, v82
	v_add_nc_u32_e32 v91, 15, v82
	v_add_nc_u32_e32 v97, 45, v82
	v_add_nc_u32_e32 v92, 20, v82
	v_add_nc_u32_e32 v93, 25, v82
	v_or_b32_e32 v88, 0x50, v82
; %bb.10:
	s_wait_alu 0xfffe
	s_or_saveexec_b32 s1, s0
	v_lshlrev_b64_e32 v[20:21], 3, v[2:3]
	v_add_nc_u32_e32 v83, 60, v82
	v_add_nc_u32_e32 v67, 0x5a, v82
	;; [unrolled: 1-line block ×3, first 2 shown]
	v_or_b32_e32 v74, 0x78, v82
	v_add_nc_u32_e32 v69, 0x87, v82
	v_add_nc_u32_e32 v85, 50, v82
	;; [unrolled: 1-line block ×10, first 2 shown]
                                        ; implicit-def: $vgpr7
                                        ; implicit-def: $vgpr19
                                        ; implicit-def: $vgpr9
                                        ; implicit-def: $vgpr17
                                        ; implicit-def: $vgpr13
                                        ; implicit-def: $vgpr23
                                        ; implicit-def: $vgpr11
                                        ; implicit-def: $vgpr15
                                        ; implicit-def: $vgpr5
                                        ; implicit-def: $vgpr3
                                        ; implicit-def: $vgpr29
                                        ; implicit-def: $vgpr61
                                        ; implicit-def: $vgpr37
                                        ; implicit-def: $vgpr59
                                        ; implicit-def: $vgpr41
                                        ; implicit-def: $vgpr57
                                        ; implicit-def: $vgpr39
                                        ; implicit-def: $vgpr55
                                        ; implicit-def: $vgpr27
                                        ; implicit-def: $vgpr25
                                        ; implicit-def: $vgpr33
                                        ; implicit-def: $vgpr51
                                        ; implicit-def: $vgpr35
                                        ; implicit-def: $vgpr49
                                        ; implicit-def: $vgpr45
                                        ; implicit-def: $vgpr53
                                        ; implicit-def: $vgpr43
                                        ; implicit-def: $vgpr47
                                        ; implicit-def: $vgpr31
                                        ; implicit-def: $vgpr63
	s_wait_alu 0xfffe
	s_xor_b32 exec_lo, exec_lo, s1
	s_cbranch_execz .LBB0_12
; %bb.11:
	v_mad_co_u64_u32 v[2:3], null, s8, v82, 0
	v_mad_co_u64_u32 v[4:5], null, s8, v76, 0
	;; [unrolled: 1-line block ×4, first 2 shown]
	s_delay_alu instid0(VALU_DEP_4) | instskip(NEXT) | instid1(VALU_DEP_4)
	v_dual_mov_b32 v0, v3 :: v_dual_add_nc_u32 v19, 0x4b, v82
	v_mov_b32_e32 v3, v5
	v_mad_co_u64_u32 v[17:18], null, s8, v67, 0
	s_delay_alu instid0(VALU_DEP_3) | instskip(SKIP_1) | instid1(VALU_DEP_4)
	v_mad_co_u64_u32 v[5:6], null, s9, v82, v[0:1]
	v_mov_b32_e32 v0, v8
	v_mad_co_u64_u32 v[11:12], null, s9, v76, v[3:4]
	v_mad_co_u64_u32 v[15:16], null, s8, v19, 0
	;; [unrolled: 1-line block ×3, first 2 shown]
	v_mov_b32_e32 v3, v5
	v_mad_co_u64_u32 v[12:13], null, s9, v71, v[0:1]
	v_mad_co_u64_u32 v[13:14], null, s8, v83, 0
	v_mov_b32_e32 v5, v11
	v_mad_co_u64_u32 v[10:11], null, s9, v64, v[10:11]
	v_lshlrev_b64_e32 v[2:3], 3, v[2:3]
	v_mov_b32_e32 v8, v12
	v_add_co_u32 v0, s0, s10, v20
	v_mov_b32_e32 v11, v14
	s_wait_alu 0xf1ff
	v_add_co_ci_u32_e64 v6, s0, s11, v21, s0
	v_lshlrev_b64_e32 v[4:5], 3, v[4:5]
	v_add_co_u32 v2, s0, v0, v2
	v_mad_co_u64_u32 v[11:12], null, s9, v83, v[11:12]
	v_mov_b32_e32 v12, v16
	v_lshlrev_b64_e32 v[7:8], 3, v[7:8]
	s_wait_alu 0xf1ff
	v_add_co_ci_u32_e64 v3, s0, v6, v3, s0
	v_add_co_u32 v4, s0, v0, v4
	v_mov_b32_e32 v14, v11
	v_mad_co_u64_u32 v[11:12], null, s9, v19, v[12:13]
	v_lshlrev_b64_e32 v[9:10], 3, v[9:10]
	s_wait_alu 0xf1ff
	v_add_co_ci_u32_e64 v5, s0, v6, v5, s0
	v_add_co_u32 v7, s0, v0, v7
	v_lshlrev_b64_e32 v[12:13], 3, v[13:14]
	s_wait_alu 0xf1ff
	v_add_co_ci_u32_e64 v8, s0, v6, v8, s0
	v_mov_b32_e32 v14, v18
	v_mad_co_u64_u32 v[24:25], null, s8, v74, 0
	v_mov_b32_e32 v16, v11
	v_add_co_u32 v9, s0, v0, v9
	s_wait_alu 0xf1ff
	v_add_co_ci_u32_e64 v10, s0, v6, v10, s0
	v_add_co_u32 v11, s0, v0, v12
	v_mad_co_u64_u32 v[18:19], null, s9, v67, v[14:15]
	v_lshlrev_b64_e32 v[14:15], 3, v[15:16]
	s_wait_alu 0xf1ff
	v_add_co_ci_u32_e64 v12, s0, v6, v13, s0
	v_mov_b32_e32 v13, v23
	v_mad_co_u64_u32 v[36:37], null, s8, v78, 0
	v_add_nc_u32_e32 v43, 0x5f, v82
	v_mad_co_u64_u32 v[103:104], null, s8, v77, 0
	s_delay_alu instid0(VALU_DEP_4)
	v_mad_co_u64_u32 v[26:27], null, s9, v84, v[13:14]
	v_add_co_u32 v13, s0, v0, v14
	s_wait_alu 0xf1ff
	v_add_co_ci_u32_e64 v14, s0, v6, v15, s0
	v_lshlrev_b64_e32 v[15:16], 3, v[17:18]
	v_mad_co_u64_u32 v[18:19], null, s8, v69, 0
	v_mov_b32_e32 v17, v25
	v_mov_b32_e32 v23, v26
	s_delay_alu instid0(VALU_DEP_4)
	v_add_co_u32 v15, s0, v0, v15
	s_wait_alu 0xf1ff
	v_add_co_ci_u32_e64 v16, s0, v6, v16, s0
	v_mad_co_u64_u32 v[25:26], null, s9, v74, v[17:18]
	v_mov_b32_e32 v17, v19
	v_mad_co_u64_u32 v[26:27], null, s8, v81, 0
	s_delay_alu instid0(VALU_DEP_2) | instskip(SKIP_1) | instid1(VALU_DEP_3)
	v_mad_co_u64_u32 v[28:29], null, s9, v69, v[17:18]
	v_mad_co_u64_u32 v[29:30], null, s8, v73, 0
	v_mov_b32_e32 v17, v27
	v_lshlrev_b64_e32 v[24:25], 3, v[24:25]
	s_delay_alu instid0(VALU_DEP_4) | instskip(NEXT) | instid1(VALU_DEP_3)
	v_mov_b32_e32 v19, v28
	v_mad_co_u64_u32 v[31:32], null, s9, v81, v[17:18]
	s_delay_alu instid0(VALU_DEP_2) | instskip(SKIP_1) | instid1(VALU_DEP_3)
	v_lshlrev_b64_e32 v[17:18], 3, v[18:19]
	v_mov_b32_e32 v19, v30
	v_mov_b32_e32 v27, v31
	v_mad_co_u64_u32 v[31:32], null, s8, v68, 0
	s_delay_alu instid0(VALU_DEP_3) | instskip(SKIP_1) | instid1(VALU_DEP_4)
	v_mad_co_u64_u32 v[33:34], null, s9, v73, v[19:20]
	v_mad_co_u64_u32 v[34:35], null, s8, v85, 0
	v_lshlrev_b64_e32 v[26:27], 3, v[26:27]
	s_delay_alu instid0(VALU_DEP_3) | instskip(SKIP_1) | instid1(VALU_DEP_2)
	v_dual_mov_b32 v19, v32 :: v_dual_mov_b32 v30, v33
	v_lshlrev_b64_e32 v[22:23], 3, v[22:23]
	v_mad_co_u64_u32 v[32:33], null, s9, v68, v[19:20]
	v_mov_b32_e32 v19, v35
	s_delay_alu instid0(VALU_DEP_4) | instskip(NEXT) | instid1(VALU_DEP_4)
	v_lshlrev_b64_e32 v[28:29], 3, v[29:30]
	v_add_co_u32 v22, s0, v0, v22
	s_wait_alu 0xf1ff
	v_add_co_ci_u32_e64 v23, s0, v6, v23, s0
	v_add_co_u32 v24, s0, v0, v24
	v_mad_co_u64_u32 v[38:39], null, s9, v85, v[19:20]
	s_wait_alu 0xf1ff
	v_add_co_ci_u32_e64 v25, s0, v6, v25, s0
	v_lshlrev_b64_e32 v[30:31], 3, v[31:32]
	v_mad_co_u64_u32 v[32:33], null, s8, v88, 0
	v_add_co_u32 v17, s0, v0, v17
	s_wait_alu 0xf1ff
	v_add_co_ci_u32_e64 v18, s0, v6, v18, s0
	v_mov_b32_e32 v19, v37
	v_add_co_u32 v26, s0, v0, v26
	s_wait_alu 0xf1ff
	v_add_co_ci_u32_e64 v27, s0, v6, v27, s0
	v_add_co_u32 v28, s0, v0, v28
	v_mov_b32_e32 v35, v38
	v_mad_co_u64_u32 v[37:38], null, s9, v78, v[19:20]
	v_mov_b32_e32 v19, v33
	s_wait_alu 0xf1ff
	v_add_co_ci_u32_e64 v29, s0, v6, v29, s0
	v_add_co_u32 v38, s0, v0, v30
	s_wait_alu 0xf1ff
	v_add_co_ci_u32_e64 v39, s0, v6, v31, s0
	v_lshlrev_b64_e32 v[30:31], 3, v[34:35]
	v_mad_co_u64_u32 v[34:35], null, s8, v43, 0
	v_mad_co_u64_u32 v[40:41], null, s9, v88, v[19:20]
	;; [unrolled: 1-line block ×3, first 2 shown]
	s_delay_alu instid0(VALU_DEP_4)
	v_add_co_u32 v56, s0, v0, v30
	s_wait_alu 0xf1ff
	v_add_co_ci_u32_e64 v57, s0, v6, v31, s0
	v_mov_b32_e32 v19, v35
	v_lshlrev_b64_e32 v[30:31], 3, v[36:37]
	v_dual_mov_b32 v33, v40 :: v_dual_add_nc_u32 v40, 0x7d, v82
	s_delay_alu instid0(VALU_DEP_3) | instskip(SKIP_1) | instid1(VALU_DEP_3)
	v_mad_co_u64_u32 v[35:36], null, s9, v43, v[19:20]
	v_mov_b32_e32 v19, v42
	v_mad_co_u64_u32 v[36:37], null, s8, v40, 0
	v_add_co_u32 v58, s0, v0, v30
	s_wait_alu 0xf1ff
	v_add_co_ci_u32_e64 v59, s0, v6, v31, s0
	v_lshlrev_b64_e32 v[30:31], 3, v[32:33]
	v_mad_co_u64_u32 v[32:33], null, s9, v79, v[19:20]
	v_mad_co_u64_u32 v[43:44], null, s8, v66, 0
	v_mov_b32_e32 v19, v37
	s_delay_alu instid0(VALU_DEP_4)
	v_add_co_u32 v60, s0, v0, v30
	s_wait_alu 0xf1ff
	v_add_co_ci_u32_e64 v61, s0, v6, v31, s0
	v_lshlrev_b64_e32 v[30:31], 3, v[34:35]
	v_mov_b32_e32 v42, v32
	v_mad_co_u64_u32 v[32:33], null, s9, v40, v[19:20]
	v_mov_b32_e32 v19, v44
	v_mad_co_u64_u32 v[33:34], null, s8, v80, 0
	v_add_co_u32 v89, s0, v0, v30
	s_wait_alu 0xf1ff
	v_add_co_ci_u32_e64 v90, s0, v6, v31, s0
	v_lshlrev_b64_e32 v[30:31], 3, v[41:42]
	v_mad_co_u64_u32 v[40:41], null, s9, v66, v[19:20]
	v_mad_co_u64_u32 v[41:42], null, s8, v72, 0
	v_mov_b32_e32 v37, v32
	v_mov_b32_e32 v19, v34
	v_add_co_u32 v91, s0, v0, v30
	s_wait_alu 0xf1ff
	v_add_co_ci_u32_e64 v92, s0, v6, v31, s0
	v_lshlrev_b64_e32 v[30:31], 3, v[36:37]
	v_mad_co_u64_u32 v[34:35], null, s9, v80, v[19:20]
	v_dual_mov_b32 v19, v42 :: v_dual_mov_b32 v44, v40
	s_delay_alu instid0(VALU_DEP_3) | instskip(NEXT) | instid1(VALU_DEP_2)
	v_add_co_u32 v93, s0, v0, v30
	v_mad_co_u64_u32 v[35:36], null, s9, v72, v[19:20]
	v_mad_co_u64_u32 v[36:37], null, s8, v65, 0
	s_wait_alu 0xf1ff
	v_add_co_ci_u32_e64 v94, s0, v6, v31, s0
	v_lshlrev_b64_e32 v[30:31], 3, v[43:44]
	s_delay_alu instid0(VALU_DEP_3) | instskip(NEXT) | instid1(VALU_DEP_2)
	v_dual_mov_b32 v42, v35 :: v_dual_mov_b32 v19, v37
	v_add_co_u32 v95, s0, v0, v30
	s_wait_alu 0xf1ff
	s_delay_alu instid0(VALU_DEP_3) | instskip(SKIP_4) | instid1(VALU_DEP_4)
	v_add_co_ci_u32_e64 v96, s0, v6, v31, s0
	v_lshlrev_b64_e32 v[30:31], 3, v[33:34]
	v_mad_co_u64_u32 v[43:44], null, s9, v65, v[19:20]
	v_mad_co_u64_u32 v[32:33], null, s8, v86, 0
	;; [unrolled: 1-line block ×3, first 2 shown]
	v_add_co_u32 v97, s0, v0, v30
	s_wait_alu 0xf1ff
	v_add_co_ci_u32_e64 v98, s0, v6, v31, s0
	v_lshlrev_b64_e32 v[30:31], 3, v[41:42]
	v_mov_b32_e32 v37, v43
	v_mov_b32_e32 v19, v33
	;; [unrolled: 1-line block ×3, first 2 shown]
	s_delay_alu instid0(VALU_DEP_4)
	v_add_co_u32 v99, s0, v0, v30
	s_wait_alu 0xf1ff
	v_add_co_ci_u32_e64 v100, s0, v6, v31, s0
	v_lshlrev_b64_e32 v[30:31], 3, v[36:37]
	v_mad_co_u64_u32 v[36:37], null, s8, v70, 0
	v_mad_co_u64_u32 v[40:41], null, s9, v86, v[19:20]
	;; [unrolled: 1-line block ×3, first 2 shown]
	s_delay_alu instid0(VALU_DEP_4) | instskip(NEXT) | instid1(VALU_DEP_4)
	v_add_co_u32 v101, s0, v0, v30
	v_mov_b32_e32 v19, v37
	s_wait_alu 0xf1ff
	v_add_co_ci_u32_e64 v102, s0, v6, v31, s0
	v_mov_b32_e32 v33, v40
	v_mov_b32_e32 v35, v41
	v_mad_co_u64_u32 v[40:41], null, s9, v70, v[19:20]
	v_mad_co_u64_u32 v[42:43], null, s8, v87, 0
	s_delay_alu instid0(VALU_DEP_4) | instskip(NEXT) | instid1(VALU_DEP_4)
	v_lshlrev_b64_e32 v[30:31], 3, v[32:33]
	v_lshlrev_b64_e32 v[33:34], 3, v[34:35]
	v_mov_b32_e32 v19, v104
	v_mov_b32_e32 v37, v40
	s_delay_alu instid0(VALU_DEP_4) | instskip(SKIP_2) | instid1(VALU_DEP_3)
	v_add_co_u32 v105, s0, v0, v30
	s_wait_alu 0xf1ff
	v_add_co_ci_u32_e64 v106, s0, v6, v31, s0
	v_lshlrev_b64_e32 v[30:31], 3, v[36:37]
	v_add_nc_u32_e32 v36, 0x82, v82
	v_mov_b32_e32 v32, v43
	v_add_co_u32 v107, s0, v0, v33
	s_wait_alu 0xf1ff
	v_add_co_ci_u32_e64 v108, s0, v6, v34, s0
	v_mad_co_u64_u32 v[109:110], null, s8, v36, 0
	v_mad_co_u64_u32 v[43:44], null, s9, v87, v[32:33]
	;; [unrolled: 1-line block ×3, first 2 shown]
	v_add_nc_u32_e32 v37, 0x91, v82
	v_add_co_u32 v111, s0, v0, v30
	v_mov_b32_e32 v19, v110
	v_lshlrev_b64_e32 v[32:33], 3, v[42:43]
	s_wait_alu 0xf1ff
	v_add_co_ci_u32_e64 v112, s0, v6, v31, s0
	s_clause 0x3
	global_load_b64 v[62:63], v[2:3], off
	global_load_b64 v[30:31], v[4:5], off
	;; [unrolled: 1-line block ×4, first 2 shown]
	v_mad_co_u64_u32 v[2:3], null, s9, v36, v[19:20]
	v_mad_co_u64_u32 v[7:8], null, s8, v37, 0
	v_mov_b32_e32 v104, v34
	v_add_co_u32 v113, s0, v0, v32
	s_wait_alu 0xf1ff
	v_add_co_ci_u32_e64 v114, s0, v6, v33, s0
	v_mov_b32_e32 v110, v2
	v_mov_b32_e32 v2, v8
	s_clause 0x7
	global_load_b64 v[52:53], v[11:12], off
	global_load_b64 v[44:45], v[13:14], off
	;; [unrolled: 1-line block ×8, first 2 shown]
	v_lshlrev_b64_e32 v[12:13], 3, v[103:104]
	s_clause 0x3
	global_load_b64 v[54:55], v[38:39], off
	global_load_b64 v[38:39], v[56:57], off
	;; [unrolled: 1-line block ×4, first 2 shown]
	v_lshlrev_b64_e32 v[16:17], 3, v[109:110]
	v_mad_co_u64_u32 v[8:9], null, s9, v37, v[2:3]
	s_clause 0x3
	global_load_b64 v[58:59], v[89:90], off
	global_load_b64 v[36:37], v[91:92], off
	global_load_b64 v[60:61], v[93:94], off
	global_load_b64 v[28:29], v[95:96], off
	v_add_co_u32 v18, s0, v0, v12
	s_wait_alu 0xf1ff
	v_add_co_ci_u32_e64 v19, s0, v6, v13, s0
	v_add_co_u32 v89, s0, v0, v16
	v_lshlrev_b64_e32 v[7:8], 3, v[7:8]
	s_wait_alu 0xf1ff
	v_add_co_ci_u32_e64 v90, s0, v6, v17, s0
	s_clause 0x3
	global_load_b64 v[2:3], v[97:98], off
	global_load_b64 v[4:5], v[99:100], off
	;; [unrolled: 1-line block ×4, first 2 shown]
	v_mov_b32_e32 v93, v72
	v_mov_b32_e32 v97, v64
	v_add_co_u32 v91, s0, v0, v7
	s_wait_alu 0xf1ff
	v_add_co_ci_u32_e64 v92, s0, v6, v8, s0
	s_clause 0x5
	global_load_b64 v[22:23], v[107:108], off
	global_load_b64 v[12:13], v[111:112], off
	;; [unrolled: 1-line block ×6, first 2 shown]
	v_mov_b32_e32 v90, v80
	v_dual_mov_b32 v92, v73 :: v_dual_mov_b32 v91, v76
	v_dual_mov_b32 v96, v65 :: v_dual_mov_b32 v95, v68
	;; [unrolled: 1-line block ×3, first 2 shown]
.LBB0_12:
	s_or_b32 exec_lo, exec_lo, s1
	v_mul_hi_u32 v0, 0xaaaaaaab, v1
	s_wait_loadcnt 0x17
	v_dual_add_f32 v98, v46, v62 :: v_dual_add_f32 v99, v48, v52
	s_wait_loadcnt 0x15
	v_dual_sub_f32 v100, v47, v51 :: v_dual_sub_f32 v101, v53, v49
	v_dual_add_f32 v104, v50, v46 :: v_dual_add_f32 v107, v47, v63
	s_delay_alu instid0(VALU_DEP_3) | instskip(SKIP_3) | instid1(VALU_DEP_3)
	v_fma_f32 v99, -0.5, v99, v62
	v_lshrrev_b32_e32 v0, 3, v0
	v_dual_sub_f32 v102, v46, v52 :: v_dual_sub_f32 v105, v52, v46
	v_dual_sub_f32 v103, v50, v48 :: v_dual_sub_f32 v106, v48, v50
	v_mul_lo_u32 v0, v0, 12
	v_add_f32_e32 v98, v52, v98
	v_fmamk_f32 v108, v100, 0x3f737871, v99
	v_fmac_f32_e32 v99, 0xbf737871, v100
	v_fmac_f32_e32 v62, -0.5, v104
	v_add_f32_e32 v104, v106, v105
	s_delay_alu instid0(VALU_DEP_3) | instskip(SKIP_1) | instid1(VALU_DEP_4)
	v_dual_fmac_f32 v99, 0xbf167918, v101 :: v_dual_add_f32 v102, v103, v102
	v_sub_nc_u32_e32 v0, v1, v0
	v_dual_fmamk_f32 v1, v101, 0xbf737871, v62 :: v_dual_add_f32 v98, v48, v98
	s_delay_alu instid0(VALU_DEP_3) | instskip(NEXT) | instid1(VALU_DEP_2)
	v_dual_sub_f32 v48, v52, v48 :: v_dual_fmac_f32 v99, 0x3e9e377a, v102
	v_fmac_f32_e32 v1, 0x3f167918, v100
	s_delay_alu instid0(VALU_DEP_3) | instskip(SKIP_3) | instid1(VALU_DEP_2)
	v_add_f32_e32 v103, v50, v98
	v_mul_u32_u24_e32 v98, 0x96, v0
	v_add_f32_e32 v0, v49, v53
	v_fmac_f32_e32 v108, 0x3f167918, v101
	v_fma_f32 v105, -0.5, v0, v63
	v_sub_f32_e32 v0, v46, v50
	v_dual_fmac_f32 v62, 0x3f737871, v101 :: v_dual_add_f32 v101, v53, v107
	v_add_f32_e32 v50, v51, v47
	s_delay_alu instid0(VALU_DEP_1) | instskip(NEXT) | instid1(VALU_DEP_3)
	v_dual_fmac_f32 v62, 0xbf167918, v100 :: v_dual_fmac_f32 v63, -0.5, v50
	v_add_f32_e32 v46, v49, v101
	v_dual_sub_f32 v101, v51, v49 :: v_dual_fmamk_f32 v100, v0, 0xbf737871, v105
	v_dual_sub_f32 v49, v49, v51 :: v_dual_sub_f32 v52, v47, v53
	v_dual_sub_f32 v47, v53, v47 :: v_dual_fmac_f32 v108, 0x3e9e377a, v102
	v_fmac_f32_e32 v1, 0x3e9e377a, v104
	v_fmac_f32_e32 v105, 0x3f737871, v0
	s_wait_loadcnt 0x14
	v_add_f32_e32 v53, v32, v42
	v_dual_add_f32 v47, v49, v47 :: v_dual_add_f32 v102, v51, v46
	v_dual_add_f32 v46, v101, v52 :: v_dual_fmamk_f32 v101, v48, 0x3f737871, v63
	v_fmac_f32_e32 v63, 0xbf737871, v48
	v_fmac_f32_e32 v100, 0xbf167918, v48
	v_dual_fmac_f32 v105, 0x3f167918, v48 :: v_dual_add_f32 v48, v42, v30
	s_delay_alu instid0(VALU_DEP_4) | instskip(NEXT) | instid1(VALU_DEP_4)
	v_fmac_f32_e32 v101, 0xbf167918, v0
	v_fmac_f32_e32 v63, 0x3f167918, v0
	v_dual_sub_f32 v51, v42, v44 :: v_dual_sub_f32 v52, v32, v34
	s_delay_alu instid0(VALU_DEP_3) | instskip(NEXT) | instid1(VALU_DEP_3)
	v_fmac_f32_e32 v101, 0x3e9e377a, v47
	v_dual_fmac_f32 v63, 0x3e9e377a, v47 :: v_dual_fmac_f32 v100, 0x3e9e377a, v46
	s_delay_alu instid0(VALU_DEP_3) | instskip(SKIP_2) | instid1(VALU_DEP_3)
	v_dual_add_f32 v50, v34, v44 :: v_dual_add_f32 v51, v52, v51
	v_dual_fmac_f32 v62, 0x3e9e377a, v104 :: v_dual_fmac_f32 v105, 0x3e9e377a, v46
	v_sub_f32_e32 v46, v45, v35
	v_fma_f32 v49, -0.5, v50, v30
	v_dual_fmac_f32 v30, -0.5, v53 :: v_dual_sub_f32 v53, v34, v32
	v_sub_f32_e32 v50, v43, v33
	v_dual_add_f32 v0, v44, v48 :: v_dual_add_f32 v47, v35, v45
	s_delay_alu instid0(VALU_DEP_2) | instskip(SKIP_1) | instid1(VALU_DEP_3)
	v_fmamk_f32 v48, v50, 0x3f737871, v49
	v_fmac_f32_e32 v49, 0xbf737871, v50
	v_fma_f32 v104, -0.5, v47, v31
	v_dual_add_f32 v47, v33, v43 :: v_dual_sub_f32 v52, v44, v42
	s_delay_alu instid0(VALU_DEP_4) | instskip(NEXT) | instid1(VALU_DEP_4)
	v_fmac_f32_e32 v48, 0x3f167918, v46
	v_dual_fmac_f32 v49, 0xbf167918, v46 :: v_dual_add_f32 v0, v34, v0
	v_sub_f32_e32 v34, v44, v34
	s_delay_alu instid0(VALU_DEP_2) | instskip(NEXT) | instid1(VALU_DEP_3)
	v_dual_sub_f32 v44, v43, v45 :: v_dual_fmac_f32 v49, 0x3e9e377a, v51
	v_add_f32_e32 v0, v32, v0
	v_sub_f32_e32 v32, v42, v32
	v_add_f32_e32 v42, v53, v52
	v_fmac_f32_e32 v48, 0x3e9e377a, v51
	v_fmamk_f32 v51, v46, 0xbf737871, v30
	s_delay_alu instid0(VALU_DEP_1) | instskip(SKIP_3) | instid1(VALU_DEP_3)
	v_fmac_f32_e32 v51, 0x3f167918, v50
	v_fmac_f32_e32 v30, 0x3f737871, v46
	v_add_f32_e32 v46, v43, v31
	v_fmac_f32_e32 v31, -0.5, v47
	v_dual_sub_f32 v43, v45, v43 :: v_dual_fmac_f32 v30, 0xbf167918, v50
	s_delay_alu instid0(VALU_DEP_2) | instskip(SKIP_2) | instid1(VALU_DEP_4)
	v_fmamk_f32 v52, v34, 0x3f737871, v31
	v_fmac_f32_e32 v31, 0xbf737871, v34
	v_fmac_f32_e32 v51, 0x3e9e377a, v42
	;; [unrolled: 1-line block ×3, first 2 shown]
	v_dual_add_f32 v42, v45, v46 :: v_dual_sub_f32 v45, v35, v33
	s_delay_alu instid0(VALU_DEP_4) | instskip(SKIP_2) | instid1(VALU_DEP_4)
	v_fmac_f32_e32 v31, 0x3f167918, v32
	v_fmamk_f32 v50, v32, 0xbf737871, v104
	v_dual_sub_f32 v46, v33, v35 :: v_dual_mul_f32 v107, 0xbf167918, v48
	v_dual_add_f32 v43, v45, v43 :: v_dual_fmac_f32 v104, 0x3f737871, v32
	v_fmac_f32_e32 v52, 0xbf167918, v32
	s_delay_alu instid0(VALU_DEP_3) | instskip(NEXT) | instid1(VALU_DEP_3)
	v_dual_add_f32 v44, v46, v44 :: v_dual_mul_f32 v109, 0xbf737871, v51
	v_dual_fmac_f32 v31, 0x3e9e377a, v43 :: v_dual_add_f32 v32, v35, v42
	s_delay_alu instid0(VALU_DEP_3) | instskip(SKIP_2) | instid1(VALU_DEP_4)
	v_fmac_f32_e32 v52, 0x3e9e377a, v43
	v_mul_f32_e32 v42, 0x3e9e377a, v51
	v_mul_f32_e32 v35, 0x3f4f1bbd, v48
	v_dual_add_f32 v43, v33, v32 :: v_dual_fmac_f32 v50, 0xbf167918, v34
	s_delay_alu instid0(VALU_DEP_3) | instskip(NEXT) | instid1(VALU_DEP_1)
	v_fmac_f32_e32 v42, 0x3f737871, v52
	v_dual_fmac_f32 v50, 0x3e9e377a, v44 :: v_dual_sub_f32 v51, v1, v42
	v_fmac_f32_e32 v104, 0x3f167918, v34
	v_mul_f32_e32 v32, 0x3f4f1bbd, v49
	v_add_f32_e32 v46, v1, v42
	s_delay_alu instid0(VALU_DEP_4) | instskip(SKIP_2) | instid1(VALU_DEP_2)
	v_fmac_f32_e32 v35, 0x3f167918, v50
	s_wait_loadcnt 0x11
	v_add_f32_e32 v1, v54, v24
	v_dual_fmac_f32 v104, 0x3e9e377a, v44 :: v_dual_add_f32 v45, v108, v35
	v_mul_f32_e32 v34, 0x3e9e377a, v30
	s_delay_alu instid0(VALU_DEP_2)
	v_fma_f32 v106, 0x3f167918, v104, -v32
	s_wait_loadcnt 0xf
	v_dual_mul_f32 v32, 0x3f4f1bbd, v104 :: v_dual_add_f32 v1, v56, v1
	v_add_f32_e32 v44, v0, v103
	v_fma_f32 v53, 0x3f737871, v31, -v34
	v_mul_f32_e32 v31, 0x3e9e377a, v31
	s_delay_alu instid0(VALU_DEP_4)
	v_fma_f32 v110, 0xbf167918, v49, -v32
	v_sub_f32_e32 v49, v103, v0
	s_wait_loadcnt 0xd
	v_add_f32_e32 v0, v58, v56
	v_add_f32_e32 v47, v62, v53
	v_fma_f32 v104, 0xbf737871, v30, -v31
	v_add_f32_e32 v34, v105, v110
	s_wait_loadcnt 0xb
	v_sub_f32_e32 v103, v60, v58
	s_delay_alu instid0(VALU_DEP_3)
	v_add_f32_e32 v33, v63, v104
	v_dual_fmac_f32 v109, 0x3e9e377a, v52 :: v_dual_sub_f32 v52, v62, v53
	v_sub_f32_e32 v53, v99, v106
	v_fma_f32 v62, -0.5, v0, v24
	v_dual_sub_f32 v0, v63, v104 :: v_dual_add_f32 v63, v58, v1
	v_add_f32_e32 v48, v99, v106
	v_sub_f32_e32 v99, v55, v61
	v_dual_fmac_f32 v107, 0x3f4f1bbd, v50 :: v_dual_sub_f32 v50, v108, v35
	v_sub_f32_e32 v1, v105, v110
	v_dual_sub_f32 v104, v56, v54 :: v_dual_sub_f32 v105, v58, v60
	s_delay_alu instid0(VALU_DEP_3) | instskip(SKIP_1) | instid1(VALU_DEP_3)
	v_dual_add_f32 v31, v100, v107 :: v_dual_add_f32 v32, v101, v109
	v_sub_f32_e32 v35, v102, v43
	v_dual_add_f32 v63, v60, v63 :: v_dual_add_f32 v104, v105, v104
	v_add_f32_e32 v106, v60, v54
	s_delay_alu instid0(VALU_DEP_1)
	v_fmac_f32_e32 v24, -0.5, v106
	v_dual_add_f32 v30, v43, v102 :: v_dual_sub_f32 v43, v101, v109
	v_dual_sub_f32 v101, v57, v59 :: v_dual_sub_f32 v102, v54, v56
	v_sub_f32_e32 v54, v54, v60
	v_add_f32_e32 v106, v55, v25
	v_dual_sub_f32 v42, v100, v107 :: v_dual_add_f32 v107, v59, v57
	v_fmamk_f32 v100, v99, 0x3f737871, v62
	v_fmac_f32_e32 v62, 0xbf737871, v99
	v_sub_f32_e32 v56, v56, v58
	v_dual_add_f32 v102, v103, v102 :: v_dual_fmamk_f32 v103, v101, 0xbf737871, v24
	v_fmac_f32_e32 v24, 0x3f737871, v101
	v_fma_f32 v105, -0.5, v107, v25
	v_fmac_f32_e32 v100, 0x3f167918, v101
	v_fmac_f32_e32 v62, 0xbf167918, v101
	;; [unrolled: 1-line block ×4, first 2 shown]
	v_fmamk_f32 v99, v54, 0xbf737871, v105
	v_fmac_f32_e32 v105, 0x3f737871, v54
	v_dual_add_f32 v101, v57, v106 :: v_dual_sub_f32 v58, v55, v57
	s_delay_alu instid0(VALU_DEP_3) | instskip(NEXT) | instid1(VALU_DEP_2)
	v_fmac_f32_e32 v99, 0xbf167918, v56
	v_dual_fmac_f32 v105, 0x3f167918, v56 :: v_dual_add_f32 v60, v59, v101
	v_add_f32_e32 v101, v61, v55
	v_sub_f32_e32 v55, v57, v55
	v_sub_f32_e32 v57, v59, v61
	s_delay_alu instid0(VALU_DEP_3) | instskip(SKIP_1) | instid1(VALU_DEP_3)
	v_fmac_f32_e32 v25, -0.5, v101
	v_dual_add_f32 v101, v61, v60 :: v_dual_fmac_f32 v100, 0x3e9e377a, v102
	v_dual_add_f32 v55, v57, v55 :: v_dual_fmac_f32 v62, 0x3e9e377a, v102
	v_dual_sub_f32 v102, v61, v59 :: v_dual_add_f32 v59, v36, v40
	v_sub_f32_e32 v60, v38, v40
	s_wait_loadcnt 0xa
	v_sub_f32_e32 v61, v28, v36
	s_delay_alu instid0(VALU_DEP_3) | instskip(NEXT) | instid1(VALU_DEP_2)
	v_fma_f32 v57, -0.5, v59, v26
	v_dual_sub_f32 v59, v39, v29 :: v_dual_add_f32 v60, v61, v60
	v_add_f32_e32 v58, v102, v58
	v_fmamk_f32 v102, v56, 0x3f737871, v25
	v_dual_fmac_f32 v25, 0xbf737871, v56 :: v_dual_add_f32 v56, v38, v26
	v_sub_f32_e32 v61, v40, v38
	s_delay_alu instid0(VALU_DEP_4) | instskip(NEXT) | instid1(VALU_DEP_4)
	v_fmac_f32_e32 v99, 0x3e9e377a, v58
	v_fmac_f32_e32 v102, 0xbf167918, v54
	;; [unrolled: 1-line block ×3, first 2 shown]
	v_dual_fmac_f32 v25, 0x3f167918, v54 :: v_dual_sub_f32 v58, v41, v37
	v_add_f32_e32 v54, v40, v56
	v_fmamk_f32 v56, v59, 0x3f737871, v57
	v_fmac_f32_e32 v57, 0xbf737871, v59
	v_fmac_f32_e32 v103, 0x3e9e377a, v104
	s_delay_alu instid0(VALU_DEP_4) | instskip(NEXT) | instid1(VALU_DEP_3)
	v_dual_fmac_f32 v25, 0x3e9e377a, v55 :: v_dual_add_f32 v54, v36, v54
	v_fmac_f32_e32 v57, 0xbf167918, v58
	v_fmac_f32_e32 v24, 0x3e9e377a, v104
	s_delay_alu instid0(VALU_DEP_2) | instskip(NEXT) | instid1(VALU_DEP_1)
	v_dual_add_f32 v104, v28, v38 :: v_dual_fmac_f32 v57, 0x3e9e377a, v60
	v_fmac_f32_e32 v26, -0.5, v104
	v_sub_f32_e32 v104, v36, v28
	v_sub_f32_e32 v36, v40, v36
	v_add_f32_e32 v54, v28, v54
	v_sub_f32_e32 v28, v38, v28
	v_sub_f32_e32 v40, v39, v41
	v_add_f32_e32 v38, v104, v61
	v_fmac_f32_e32 v102, 0x3e9e377a, v55
	v_fmamk_f32 v55, v58, 0xbf737871, v26
	v_fmac_f32_e32 v26, 0x3f737871, v58
	s_delay_alu instid0(VALU_DEP_2) | instskip(NEXT) | instid1(VALU_DEP_2)
	v_fmac_f32_e32 v55, 0x3f167918, v59
	v_fmac_f32_e32 v26, 0xbf167918, v59
	v_add_f32_e32 v59, v39, v27
	s_delay_alu instid0(VALU_DEP_3) | instskip(NEXT) | instid1(VALU_DEP_3)
	v_fmac_f32_e32 v55, 0x3e9e377a, v38
	v_fmac_f32_e32 v26, 0x3e9e377a, v38
	s_delay_alu instid0(VALU_DEP_3) | instskip(SKIP_1) | instid1(VALU_DEP_4)
	v_add_f32_e32 v38, v41, v59
	v_dual_sub_f32 v59, v29, v37 :: v_dual_fmac_f32 v56, 0x3f167918, v58
	v_mul_f32_e32 v104, 0x3e9e377a, v55
	s_delay_alu instid0(VALU_DEP_2) | instskip(NEXT) | instid1(VALU_DEP_3)
	v_add_f32_e32 v40, v59, v40
	v_fmac_f32_e32 v56, 0x3e9e377a, v60
	s_delay_alu instid0(VALU_DEP_1) | instskip(NEXT) | instid1(VALU_DEP_1)
	v_dual_add_f32 v60, v37, v41 :: v_dual_mul_f32 v59, 0x3f4f1bbd, v56
	v_fma_f32 v58, -0.5, v60, v27
	v_add_f32_e32 v60, v29, v39
	v_sub_f32_e32 v39, v41, v39
	v_sub_f32_e32 v41, v37, v29
	s_delay_alu instid0(VALU_DEP_4) | instskip(NEXT) | instid1(VALU_DEP_4)
	v_fmamk_f32 v61, v28, 0xbf737871, v58
	v_fmac_f32_e32 v27, -0.5, v60
	s_delay_alu instid0(VALU_DEP_3) | instskip(NEXT) | instid1(VALU_DEP_3)
	v_dual_fmac_f32 v58, 0x3f737871, v28 :: v_dual_add_f32 v39, v41, v39
	v_fmac_f32_e32 v61, 0xbf167918, v36
	s_delay_alu instid0(VALU_DEP_3) | instskip(SKIP_1) | instid1(VALU_DEP_3)
	v_fmamk_f32 v60, v36, 0x3f737871, v27
	v_fmac_f32_e32 v27, 0xbf737871, v36
	v_fmac_f32_e32 v61, 0x3e9e377a, v40
	s_delay_alu instid0(VALU_DEP_3) | instskip(NEXT) | instid1(VALU_DEP_3)
	v_fmac_f32_e32 v60, 0xbf167918, v28
	v_dual_fmac_f32 v27, 0x3f167918, v28 :: v_dual_add_f32 v28, v37, v38
	s_delay_alu instid0(VALU_DEP_3) | instskip(NEXT) | instid1(VALU_DEP_3)
	v_fmac_f32_e32 v59, 0x3f167918, v61
	v_fmac_f32_e32 v60, 0x3e9e377a, v39
	s_delay_alu instid0(VALU_DEP_3) | instskip(NEXT) | instid1(VALU_DEP_3)
	v_dual_fmac_f32 v27, 0x3e9e377a, v39 :: v_dual_add_f32 v106, v29, v28
	v_add_f32_e32 v29, v100, v59
	s_delay_alu instid0(VALU_DEP_2) | instskip(NEXT) | instid1(VALU_DEP_1)
	v_dual_mul_f32 v109, 0xbf167918, v56 :: v_dual_sub_f32 v56, v101, v106
	v_fmac_f32_e32 v109, 0x3f4f1bbd, v61
	v_fmac_f32_e32 v58, 0x3f167918, v36
	s_delay_alu instid0(VALU_DEP_2) | instskip(NEXT) | instid1(VALU_DEP_1)
	v_dual_mul_f32 v36, 0x3e9e377a, v26 :: v_dual_sub_f32 v61, v99, v109
	v_fma_f32 v107, 0x3f737871, v27, -v36
	v_mul_f32_e32 v27, 0x3e9e377a, v27
	s_delay_alu instid0(VALU_DEP_2) | instskip(NEXT) | instid1(VALU_DEP_2)
	v_add_f32_e32 v37, v24, v107
	v_fma_f32 v111, 0xbf737871, v26, -v27
	v_add_f32_e32 v26, v106, v101
	s_wait_loadcnt 0x3
	v_dual_sub_f32 v101, v23, v17 :: v_dual_fmac_f32 v58, 0x3e9e377a, v40
	v_dual_add_f32 v28, v54, v63 :: v_dual_add_f32 v27, v99, v109
	v_add_f32_e32 v106, v15, v3
	v_mul_f32_e32 v110, 0xbf737871, v55
	s_delay_alu instid0(VALU_DEP_4) | instskip(SKIP_1) | instid1(VALU_DEP_2)
	v_mul_f32_e32 v39, 0x3f4f1bbd, v58
	v_add_f32_e32 v41, v25, v111
	v_fma_f32 v112, 0xbf167918, v57, -v39
	v_dual_mul_f32 v38, 0x3f4f1bbd, v57 :: v_dual_sub_f32 v57, v100, v59
	v_dual_sub_f32 v59, v24, v107 :: v_dual_add_f32 v24, v14, v2
	v_sub_f32_e32 v39, v63, v54
	s_delay_alu instid0(VALU_DEP_4)
	v_dual_add_f32 v54, v16, v22 :: v_dual_add_f32 v55, v105, v112
	s_wait_loadcnt 0x1
	v_sub_f32_e32 v63, v15, v19
	v_add_f32_e32 v99, v22, v24
	v_dual_fmac_f32 v104, 0x3f737871, v60 :: v_dual_add_f32 v107, v17, v23
	v_fmac_f32_e32 v110, 0x3e9e377a, v60
	v_fma_f32 v54, -0.5, v54, v2
	v_sub_f32_e32 v24, v25, v111
	s_delay_alu instid0(VALU_DEP_4)
	v_dual_add_f32 v36, v103, v104 :: v_dual_add_f32 v99, v16, v99
	v_sub_f32_e32 v25, v105, v112
	v_sub_f32_e32 v105, v16, v18
	v_fma_f32 v108, 0x3f167918, v58, -v38
	v_sub_f32_e32 v58, v103, v104
	v_sub_f32_e32 v103, v18, v16
	;; [unrolled: 1-line block ×3, first 2 shown]
	v_add_f32_e32 v104, v18, v14
	v_add_f32_e32 v38, v62, v108
	;; [unrolled: 1-line block ×3, first 2 shown]
	v_sub_f32_e32 v60, v62, v108
	v_sub_f32_e32 v62, v102, v110
	v_fmamk_f32 v100, v63, 0x3f737871, v54
	v_sub_f32_e32 v102, v14, v22
	v_fmac_f32_e32 v2, -0.5, v104
	v_fmac_f32_e32 v54, 0xbf737871, v63
	s_delay_alu instid0(VALU_DEP_4) | instskip(NEXT) | instid1(VALU_DEP_3)
	v_dual_add_f32 v99, v18, v99 :: v_dual_fmac_f32 v100, 0x3f167918, v101
	v_dual_add_f32 v102, v103, v102 :: v_dual_fmamk_f32 v103, v101, 0xbf737871, v2
	s_delay_alu instid0(VALU_DEP_3) | instskip(SKIP_4) | instid1(VALU_DEP_4)
	v_fmac_f32_e32 v54, 0xbf167918, v101
	v_dual_fmac_f32 v2, 0x3f737871, v101 :: v_dual_add_f32 v101, v23, v106
	v_sub_f32_e32 v104, v22, v14
	v_sub_f32_e32 v14, v14, v18
	;; [unrolled: 1-line block ×3, first 2 shown]
	v_fmac_f32_e32 v2, 0xbf167918, v63
	v_dual_add_f32 v18, v17, v101 :: v_dual_add_f32 v101, v19, v15
	v_sub_f32_e32 v15, v23, v15
	v_dual_sub_f32 v23, v10, v12 :: v_dual_fmac_f32 v100, 0x3e9e377a, v102
	v_fmac_f32_e32 v54, 0x3e9e377a, v102
	v_dual_sub_f32 v102, v19, v17 :: v_dual_sub_f32 v17, v17, v19
	v_fmac_f32_e32 v103, 0x3f167918, v63
	v_lshlrev_b32_e32 v111, 2, v98
	s_delay_alu instid0(VALU_DEP_3)
	v_add_f32_e32 v15, v17, v15
	v_add_f32_e32 v104, v105, v104
	v_fma_f32 v105, -0.5, v107, v3
	v_fmac_f32_e32 v3, -0.5, v101
	v_add_f32_e32 v101, v19, v18
	v_dual_add_f32 v18, v102, v22 :: v_dual_add_f32 v19, v8, v12
	s_delay_alu instid0(VALU_DEP_4) | instskip(NEXT) | instid1(VALU_DEP_4)
	v_fmamk_f32 v63, v14, 0xbf737871, v105
	v_fmamk_f32 v22, v16, 0x3f737871, v3
	v_fmac_f32_e32 v3, 0xbf737871, v16
	v_fmac_f32_e32 v105, 0x3f737871, v14
	v_fma_f32 v17, -0.5, v19, v4
	v_fmac_f32_e32 v63, 0xbf167918, v16
	s_wait_loadcnt 0x0
	v_sub_f32_e32 v19, v11, v7
	v_fmac_f32_e32 v3, 0x3f167918, v14
	v_fmac_f32_e32 v105, 0x3f167918, v16
	v_dual_sub_f32 v102, v6, v8 :: v_dual_fmac_f32 v63, 0x3e9e377a, v18
	s_delay_alu instid0(VALU_DEP_3) | instskip(SKIP_4) | instid1(VALU_DEP_4)
	v_dual_fmac_f32 v3, 0x3e9e377a, v15 :: v_dual_fmac_f32 v2, 0x3e9e377a, v104
	v_fmac_f32_e32 v22, 0xbf167918, v14
	v_dual_fmac_f32 v103, 0x3e9e377a, v104 :: v_dual_add_f32 v104, v6, v10
	v_fmac_f32_e32 v105, 0x3e9e377a, v18
	v_add_f32_e32 v23, v102, v23
	v_dual_fmac_f32 v22, 0x3e9e377a, v15 :: v_dual_add_f32 v15, v9, v13
	s_delay_alu instid0(VALU_DEP_1) | instskip(SKIP_3) | instid1(VALU_DEP_3)
	v_fma_f32 v15, -0.5, v15, v5
	v_add_f32_e32 v16, v10, v4
	v_fmac_f32_e32 v4, -0.5, v104
	v_sub_f32_e32 v104, v8, v6
	v_add_f32_e32 v14, v12, v16
	v_fmamk_f32 v16, v19, 0x3f737871, v17
	s_delay_alu instid0(VALU_DEP_2) | instskip(SKIP_1) | instid1(VALU_DEP_2)
	v_dual_fmac_f32 v17, 0xbf737871, v19 :: v_dual_add_f32 v14, v8, v14
	v_sub_f32_e32 v8, v12, v8
	v_add_f32_e32 v102, v6, v14
	v_sub_f32_e32 v6, v10, v6
	v_sub_f32_e32 v18, v13, v9
	s_delay_alu instid0(VALU_DEP_1)
	v_fmac_f32_e32 v16, 0x3f167918, v18
	v_fmac_f32_e32 v17, 0xbf167918, v18
	v_fmamk_f32 v14, v18, 0xbf737871, v4
	v_fmac_f32_e32 v4, 0x3f737871, v18
	v_add_f32_e32 v18, v11, v5
	v_fmac_f32_e32 v16, 0x3e9e377a, v23
	v_fmac_f32_e32 v17, 0x3e9e377a, v23
	v_dual_sub_f32 v23, v12, v10 :: v_dual_fmac_f32 v14, 0x3f167918, v19
	v_fmac_f32_e32 v4, 0xbf167918, v19
	v_add_f32_e32 v19, v7, v11
	v_sub_f32_e32 v12, v11, v13
	s_delay_alu instid0(VALU_DEP_4)
	v_add_f32_e32 v10, v104, v23
	v_sub_f32_e32 v11, v13, v11
	v_fmamk_f32 v23, v6, 0xbf737871, v15
	v_fmac_f32_e32 v5, -0.5, v19
	v_fmac_f32_e32 v15, 0x3f737871, v6
	v_fmac_f32_e32 v14, 0x3e9e377a, v10
	;; [unrolled: 1-line block ×3, first 2 shown]
	s_delay_alu instid0(VALU_DEP_4) | instskip(SKIP_4) | instid1(VALU_DEP_4)
	v_dual_add_f32 v10, v13, v18 :: v_dual_fmamk_f32 v19, v8, 0x3f737871, v5
	v_sub_f32_e32 v13, v9, v7
	v_fmac_f32_e32 v5, 0xbf737871, v8
	v_dual_fmac_f32 v23, 0xbf167918, v8 :: v_dual_sub_f32 v18, v7, v9
	v_fmac_f32_e32 v15, 0x3f167918, v8
	v_add_f32_e32 v11, v13, v11
	s_delay_alu instid0(VALU_DEP_4) | instskip(SKIP_2) | instid1(VALU_DEP_3)
	v_fmac_f32_e32 v5, 0x3f167918, v6
	v_mul_f32_e32 v8, 0x3e9e377a, v4
	v_dual_add_f32 v12, v18, v12 :: v_dual_fmac_f32 v19, 0xbf167918, v6
	v_dual_add_f32 v6, v9, v10 :: v_dual_fmac_f32 v5, 0x3e9e377a, v11
	v_mul_f32_e32 v10, 0x3f4f1bbd, v17
	s_delay_alu instid0(VALU_DEP_3) | instskip(NEXT) | instid1(VALU_DEP_4)
	v_fmac_f32_e32 v15, 0x3e9e377a, v12
	v_fmac_f32_e32 v19, 0x3e9e377a, v11
	v_mul_f32_e32 v110, 0xbf737871, v14
	v_fma_f32 v107, 0x3f737871, v5, -v8
	v_mul_f32_e32 v5, 0x3e9e377a, v5
	v_fmac_f32_e32 v23, 0x3e9e377a, v12
	v_fma_f32 v108, 0x3f167918, v15, -v10
	v_mul_f32_e32 v11, 0x3f4f1bbd, v15
	v_mul_f32_e32 v104, 0x3e9e377a, v14
	v_fma_f32 v5, 0xbf737871, v4, -v5
	v_add_f32_e32 v106, v7, v6
	v_fmac_f32_e32 v110, 0x3e9e377a, v19
	v_add_f32_e32 v9, v2, v107
	s_delay_alu instid0(VALU_DEP_4)
	v_dual_sub_f32 v98, v2, v107 :: v_dual_add_f32 v15, v3, v5
	v_mul_f32_e32 v18, 0x3f4f1bbd, v16
	v_mul_f32_e32 v109, 0xbf167918, v16
	v_mul_u32_u24_e32 v2, 10, v82
	v_add_nc_u32_e32 v4, 0, v111
	v_fmac_f32_e32 v104, 0x3f737871, v19
	v_fmac_f32_e32 v18, 0x3f167918, v23
	;; [unrolled: 1-line block ×3, first 2 shown]
	v_fma_f32 v23, 0xbf167918, v17, -v11
	v_add_f32_e32 v12, v106, v101
	v_add_f32_e32 v14, v22, v110
	v_sub_f32_e32 v17, v101, v106
	v_sub_f32_e32 v101, v22, v110
	v_mul_i32_i24_e32 v22, 10, v89
	v_add_f32_e32 v7, v100, v18
	v_dual_add_f32 v13, v63, v109 :: v_dual_sub_f32 v18, v100, v18
	v_sub_f32_e32 v100, v63, v109
	v_lshl_add_u32 v63, v2, 2, v4
	v_mul_i32_i24_e32 v2, 10, v90
	v_add_f32_e32 v8, v103, v104
	v_sub_f32_e32 v19, v103, v104
	v_lshl_add_u32 v104, v22, 2, v4
	v_lshlrev_b32_e32 v22, 2, v82
	v_add_f32_e32 v6, v102, v99
	v_add_f32_e32 v16, v105, v23
	v_sub_f32_e32 v103, v105, v23
	v_lshl_add_u32 v105, v2, 2, v4
	v_dual_add_f32 v10, v54, v108 :: v_dual_sub_f32 v11, v99, v102
	v_sub_f32_e32 v99, v54, v108
	ds_store_2addr_b64 v63, v[44:45], v[46:47] offset1:1
	ds_store_2addr_b64 v63, v[48:49], v[50:51] offset0:2 offset1:3
	ds_store_b64 v63, v[52:53] offset:32
	ds_store_2addr_b64 v104, v[28:29], v[36:37] offset1:1
	ds_store_2addr_b64 v104, v[38:39], v[57:58] offset0:2 offset1:3
	ds_store_b64 v104, v[59:60] offset:32
	ds_store_2addr_b64 v105, v[6:7], v[8:9] offset1:1
	ds_store_2addr_b64 v105, v[10:11], v[18:19] offset0:2 offset1:3
	v_add3_u32 v52, 0, v22, v111
	v_lshlrev_b32_e32 v11, 2, v89
	ds_store_b64 v105, v[98:99] offset:32
	global_wb scope:SCOPE_SE
	s_wait_dscnt 0x0
	s_barrier_signal -1
	s_barrier_wait -1
	global_inv scope:SCOPE_SE
	ds_load_2addr_b32 v[36:37], v52 offset0:90 offset1:95
	ds_load_2addr_b32 v[38:39], v52 offset0:120 offset1:125
	;; [unrolled: 1-line block ×4, first 2 shown]
	v_dual_mov_b32 v23, 0 :: v_dual_add_nc_u32 v44, v4, v22
	v_lshl_add_u32 v45, v94, 2, v4
	v_sub_f32_e32 v102, v3, v5
	v_add_nc_u32_e32 v46, v4, v11
	v_lshl_add_u32 v47, v95, 2, v4
	v_lshl_add_u32 v53, v92, 2, v4
	;; [unrolled: 1-line block ×5, first 2 shown]
	ds_load_2addr_b32 v[112:113], v52 offset0:70 offset1:75
	ds_load_2addr_b32 v[114:115], v52 offset0:100 offset1:105
	;; [unrolled: 1-line block ×3, first 2 shown]
	v_lshl_add_u32 v50, v91, 2, v4
	v_lshl_add_u32 v51, v97, 2, v4
	ds_load_b32 v10, v44
	ds_load_b32 v19, v45
	;; [unrolled: 1-line block ×8, first 2 shown]
	ds_load_2addr_b32 v[118:119], v52 offset0:80 offset1:85
	ds_load_2addr_b32 v[120:121], v52 offset0:110 offset1:115
	ds_load_2addr_b32 v[2:3], v52 offset0:140 offset1:145
	ds_load_b32 v7, v53
	ds_load_b32 v6, v54
	global_wb scope:SCOPE_SE
	s_wait_dscnt 0x0
	s_barrier_signal -1
	s_barrier_wait -1
	global_inv scope:SCOPE_SE
	ds_store_2addr_b64 v63, v[30:31], v[32:33] offset1:1
	ds_store_2addr_b64 v63, v[34:35], v[42:43] offset0:2 offset1:3
	ds_store_b64 v63, v[0:1] offset:32
	ds_store_2addr_b64 v104, v[26:27], v[40:41] offset1:1
	ds_store_2addr_b64 v104, v[55:56], v[61:62] offset0:2 offset1:3
	ds_store_b64 v104, v[24:25] offset:32
	;; [unrolled: 3-line block ×3, first 2 shown]
	v_mov_b32_e32 v12, v23
	v_lshlrev_b64_e32 v[0:1], 3, v[22:23]
	global_wb scope:SCOPE_SE
	s_wait_dscnt 0x0
	s_barrier_signal -1
	s_barrier_wait -1
	v_lshlrev_b64_e32 v[11:12], 3, v[11:12]
	global_inv scope:SCOPE_SE
	v_add_co_u32 v0, s0, s4, v0
	s_wait_alu 0xf1ff
	v_add_co_ci_u32_e64 v1, s0, s5, v1, s0
	v_add_co_u32 v11, s0, s4, v11
	s_wait_alu 0xf1ff
	v_add_co_ci_u32_e64 v12, s0, s5, v12, s0
	s_clause 0x3
	global_load_b128 v[15:18], v[0:1], off
	global_load_b128 v[24:27], v[11:12], off
	global_load_b128 v[28:31], v[0:1], off offset:16
	global_load_b128 v[32:35], v[11:12], off offset:16
	v_and_b32_e32 v0, 0xff, v92
	v_and_b32_e32 v1, 0xff, v93
	s_delay_alu instid0(VALU_DEP_2) | instskip(NEXT) | instid1(VALU_DEP_2)
	v_mul_lo_u16 v0, 0xcd, v0
	v_mul_lo_u16 v1, 0xcd, v1
	s_delay_alu instid0(VALU_DEP_2) | instskip(NEXT) | instid1(VALU_DEP_1)
	v_lshrrev_b16 v0, 11, v0
	v_mul_lo_u16 v0, v0, 10
	s_delay_alu instid0(VALU_DEP_1) | instskip(NEXT) | instid1(VALU_DEP_1)
	v_sub_nc_u16 v0, v92, v0
	v_and_b32_e32 v13, 0xff, v0
	v_lshrrev_b16 v0, 11, v1
	s_delay_alu instid0(VALU_DEP_2) | instskip(NEXT) | instid1(VALU_DEP_2)
	v_lshlrev_b32_e32 v1, 5, v13
	v_mul_lo_u16 v0, v0, 10
	s_clause 0x1
	global_load_b128 v[60:63], v1, s[4:5]
	global_load_b128 v[98:101], v1, s[4:5] offset:16
	v_sub_nc_u16 v0, v93, v0
	s_delay_alu instid0(VALU_DEP_1) | instskip(NEXT) | instid1(VALU_DEP_1)
	v_and_b32_e32 v14, 0xff, v0
	v_lshlrev_b32_e32 v0, 5, v14
	s_clause 0x1
	global_load_b128 v[102:105], v0, s[4:5]
	global_load_b128 v[106:109], v0, s[4:5] offset:16
	ds_load_b32 v22, v45
	ds_load_2addr_b32 v[40:41], v52 offset0:60 offset1:65
	ds_load_b32 v132, v49
	ds_load_2addr_b32 v[42:43], v52 offset0:70 offset1:75
	ds_load_b32 v0, v46
	ds_load_b32 v133, v47
	;; [unrolled: 1-line block ×6, first 2 shown]
	ds_load_2addr_b32 v[55:56], v52 offset0:90 offset1:95
	ds_load_2addr_b32 v[122:123], v52 offset0:120 offset1:125
	;; [unrolled: 1-line block ×5, first 2 shown]
	s_wait_loadcnt_dscnt 0x70e
	v_mul_f32_e32 v135, v22, v16
	v_mul_f32_e32 v136, v19, v16
	v_mul_f32_e32 v139, v130, v16
	s_wait_loadcnt 0x6
	v_mul_f32_e32 v141, v58, v27
	s_wait_dscnt 0xd
	v_mul_f32_e32 v137, v40, v18
	v_fma_f32 v135, v19, v15, -v135
	s_wait_dscnt 0xb
	v_dual_mul_f32 v19, v132, v16 :: v_dual_mul_f32 v16, v42, v18
	v_fmac_f32_e32 v139, v132, v15
	v_fmac_f32_e32 v136, v22, v15
	v_mul_f32_e32 v138, v57, v18
	s_delay_alu instid0(VALU_DEP_4)
	v_fma_f32 v130, v130, v15, -v19
	v_fma_f32 v132, v112, v17, -v16
	s_wait_loadcnt_dscnt 0x504
	v_dual_mul_f32 v16, v55, v29 :: v_dual_mul_f32 v15, v41, v27
	v_mul_f32_e32 v140, v112, v18
	ds_load_2addr_b32 v[18:19], v52 offset0:80 offset1:85
	v_fmac_f32_e32 v141, v41, v26
	v_fma_f32 v143, v36, v28, -v16
	s_wait_dscnt 0x4
	v_mul_f32_e32 v16, v122, v31
	v_fma_f32 v142, v58, v26, -v15
	s_wait_loadcnt 0x4
	v_dual_mul_f32 v15, v56, v33 :: v_dual_mul_f32 v146, v39, v35
	v_mul_f32_e32 v58, v36, v29
	v_fma_f32 v41, v38, v30, -v16
	v_mul_f32_e32 v16, v133, v25
	v_mul_f32_e32 v144, v37, v33
	v_fma_f32 v145, v37, v32, -v15
	v_mul_f32_e32 v37, v38, v31
	v_mul_f32_e32 v15, v123, v35
	v_fmac_f32_e32 v146, v123, v34
	v_fma_f32 v123, v59, v24, -v16
	v_mul_f32_e32 v16, v43, v27
	v_fma_f32 v137, v57, v17, -v137
	v_fmac_f32_e32 v138, v40, v17
	v_fmac_f32_e32 v58, v55, v28
	v_dual_fmac_f32 v144, v56, v32 :: v_dual_fmac_f32 v37, v122, v30
	v_fma_f32 v122, v39, v34, -v15
	v_mul_f32_e32 v147, v59, v25
	ds_load_2addr_b32 v[55:56], v52 offset0:110 offset1:115
	v_dual_mul_f32 v15, v134, v25 :: v_dual_mul_f32 v36, v113, v27
	v_dual_mul_f32 v38, v131, v25 :: v_dual_add_f32 v27, v10, v135
	s_wait_dscnt 0x2
	v_mul_f32_e32 v22, v128, v31
	s_delay_alu instid0(VALU_DEP_3)
	v_fma_f32 v57, v131, v24, -v15
	v_mul_f32_e32 v131, v114, v29
	v_fmac_f32_e32 v147, v133, v24
	v_mul_f32_e32 v133, v116, v31
	v_fma_f32 v116, v116, v30, -v22
	s_wait_loadcnt 0x3
	v_mul_f32_e32 v22, v124, v61
	v_mul_f32_e32 v31, v110, v61
	v_dual_fmac_f32 v131, v126, v28 :: v_dual_fmac_f32 v36, v43, v26
	v_fmac_f32_e32 v133, v128, v30
	s_wait_loadcnt 0x0
	v_dual_mul_f32 v25, v121, v107 :: v_dual_fmac_f32 v140, v42, v17
	v_fma_f32 v42, v113, v26, -v16
	ds_load_2addr_b32 v[112:113], v52 offset0:140 offset1:145
	v_mul_f32_e32 v17, v126, v29
	s_wait_dscnt 0x1
	v_dual_fmac_f32 v25, v56, v106 :: v_dual_mul_f32 v126, v117, v35
	v_fma_f32 v43, v110, v60, -v22
	v_mul_f32_e32 v22, v55, v99
	v_fma_f32 v114, v114, v28, -v17
	v_mul_f32_e32 v17, v129, v35
	v_dual_mul_f32 v35, v2, v101 :: v_dual_fmac_f32 v126, v129, v34
	s_delay_alu instid0(VALU_DEP_4) | instskip(SKIP_1) | instid1(VALU_DEP_4)
	v_fma_f32 v40, v120, v98, -v22
	v_mul_f32_e32 v22, v19, v105
	v_fma_f32 v61, v117, v34, -v17
	v_mul_f32_e32 v17, v18, v63
	v_mul_f32_e32 v34, v120, v99
	v_fmac_f32_e32 v31, v124, v60
	v_sub_f32_e32 v117, v57, v42
	ds_load_b32 v16, v53
	ds_load_b32 v15, v54
	v_fma_f32 v39, v118, v62, -v17
	v_mul_f32_e32 v17, v111, v103
	s_wait_dscnt 0x2
	v_dual_fmac_f32 v35, v112, v100 :: v_dual_fmac_f32 v34, v55, v98
	v_mul_f32_e32 v26, v113, v109
	s_delay_alu instid0(VALU_DEP_3)
	v_dual_sub_f32 v60, v136, v37 :: v_dual_fmac_f32 v17, v125, v102
	v_dual_sub_f32 v99, v136, v138 :: v_dual_fmac_f32 v38, v134, v24
	v_mul_f32_e32 v24, v127, v33
	v_add_f32_e32 v110, v130, v116
	global_wb scope:SCOPE_SE
	s_wait_dscnt 0x0
	s_barrier_signal -1
	s_barrier_wait -1
	v_fma_f32 v59, v115, v32, -v24
	v_mul_f32_e32 v24, v112, v101
	v_mul_f32_e32 v115, v115, v33
	;; [unrolled: 1-line block ×3, first 2 shown]
	v_add_f32_e32 v63, v12, v136
	v_sub_f32_e32 v112, v139, v140
	v_fma_f32 v55, v2, v100, -v24
	s_delay_alu instid0(VALU_DEP_4) | instskip(SKIP_3) | instid1(VALU_DEP_4)
	v_dual_mul_f32 v2, v125, v103 :: v_dual_fmac_f32 v33, v18, v62
	v_mul_f32_e32 v18, v119, v105
	v_fma_f32 v24, v119, v104, -v22
	v_mul_f32_e32 v22, v56, v107
	v_fma_f32 v29, v111, v102, -v2
	v_add_f32_e32 v2, v137, v143
	v_fmac_f32_e32 v18, v19, v104
	v_add_f32_e32 v62, v135, v41
	v_fmac_f32_e32 v115, v127, v32
	v_fma_f32 v30, v121, v106, -v22
	v_fma_f32 v19, -0.5, v2, v10
	v_fma_f32 v32, v3, v108, -v26
	v_add_f32_e32 v2, v27, v137
	v_dual_sub_f32 v56, v138, v58 :: v_dual_sub_f32 v27, v41, v143
	s_delay_alu instid0(VALU_DEP_4)
	v_dual_fmamk_f32 v22, v60, 0x3f737871, v19 :: v_dual_sub_f32 v105, v142, v145
	v_fmac_f32_e32 v10, -0.5, v62
	v_sub_f32_e32 v104, v123, v122
	v_sub_f32_e32 v26, v135, v137
	v_dual_mul_f32 v28, v3, v109 :: v_dual_fmac_f32 v19, 0xbf737871, v60
	v_add_f32_e32 v2, v2, v143
	s_delay_alu instid0(VALU_DEP_3) | instskip(SKIP_1) | instid1(VALU_DEP_3)
	v_dual_sub_f32 v62, v143, v41 :: v_dual_add_f32 v3, v26, v27
	v_fmamk_f32 v27, v56, 0xbf737871, v10
	v_dual_fmac_f32 v19, 0xbf167918, v56 :: v_dual_add_f32 v26, v2, v41
	v_sub_f32_e32 v2, v137, v135
	v_dual_fmac_f32 v10, 0x3f737871, v56 :: v_dual_sub_f32 v109, v116, v114
	s_delay_alu instid0(VALU_DEP_4) | instskip(SKIP_3) | instid1(VALU_DEP_3)
	v_fmac_f32_e32 v27, 0x3f167918, v60
	v_fmac_f32_e32 v22, 0x3f167918, v56
	v_dual_add_f32 v56, v63, v138 :: v_dual_fmac_f32 v19, 0x3e9e377a, v3
	v_dual_sub_f32 v107, v139, v133 :: v_dual_add_f32 v98, v138, v58
	v_fmac_f32_e32 v22, 0x3e9e377a, v3
	v_dual_add_f32 v62, v2, v62 :: v_dual_sub_f32 v63, v135, v41
	s_delay_alu instid0(VALU_DEP_4) | instskip(NEXT) | instid1(VALU_DEP_4)
	v_add_f32_e32 v41, v56, v58
	v_fma_f32 v2, -0.5, v98, v12
	v_add_f32_e32 v56, v136, v37
	v_dual_fmac_f32 v10, 0xbf167918, v60 :: v_dual_add_f32 v111, v140, v131
	s_delay_alu instid0(VALU_DEP_3) | instskip(SKIP_1) | instid1(VALU_DEP_4)
	v_dual_sub_f32 v60, v137, v143 :: v_dual_fmamk_f32 v3, v63, 0xbf737871, v2
	v_sub_f32_e32 v100, v37, v58
	v_fmac_f32_e32 v12, -0.5, v56
	v_add_f32_e32 v98, v41, v37
	v_fmac_f32_e32 v2, 0x3f737871, v63
	v_sub_f32_e32 v56, v138, v136
	v_sub_f32_e32 v37, v58, v37
	v_dual_add_f32 v58, v142, v145 :: v_dual_fmac_f32 v27, 0x3e9e377a, v62
	v_fmac_f32_e32 v10, 0x3e9e377a, v62
	v_fmac_f32_e32 v3, 0xbf167918, v60
	v_add_f32_e32 v41, v99, v100
	v_fmac_f32_e32 v2, 0x3f167918, v60
	v_add_f32_e32 v56, v56, v37
	v_add_f32_e32 v62, v9, v123
	v_fma_f32 v37, -0.5, v58, v9
	v_sub_f32_e32 v101, v147, v146
	v_fmamk_f32 v99, v60, 0x3f737871, v12
	v_fmac_f32_e32 v3, 0x3e9e377a, v41
	v_fmac_f32_e32 v2, 0x3e9e377a, v41
	;; [unrolled: 1-line block ×3, first 2 shown]
	v_dual_add_f32 v58, v62, v142 :: v_dual_fmamk_f32 v41, v101, 0x3f737871, v37
	v_sub_f32_e32 v60, v141, v144
	v_sub_f32_e32 v62, v123, v142
	;; [unrolled: 1-line block ×3, first 2 shown]
	v_dual_add_f32 v102, v123, v122 :: v_dual_fmac_f32 v37, 0xbf737871, v101
	v_fmac_f32_e32 v99, 0xbf167918, v63
	v_dual_fmac_f32 v12, 0x3f167918, v63 :: v_dual_fmac_f32 v41, 0x3f167918, v60
	s_delay_alu instid0(VALU_DEP_4) | instskip(NEXT) | instid1(VALU_DEP_4)
	v_dual_add_f32 v62, v62, v100 :: v_dual_add_f32 v119, v57, v61
	v_fmac_f32_e32 v9, -0.5, v102
	v_dual_fmac_f32 v37, 0xbf167918, v60 :: v_dual_add_f32 v102, v0, v147
	v_fmac_f32_e32 v99, 0x3e9e377a, v56
	s_delay_alu instid0(VALU_DEP_4) | instskip(NEXT) | instid1(VALU_DEP_4)
	v_dual_fmac_f32 v12, 0x3e9e377a, v56 :: v_dual_fmac_f32 v41, 0x3e9e377a, v62
	v_dual_fmamk_f32 v56, v60, 0xbf737871, v9 :: v_dual_sub_f32 v63, v142, v123
	v_sub_f32_e32 v100, v145, v122
	v_add_f32_e32 v103, v141, v144
	v_dual_fmac_f32 v9, 0x3f737871, v60 :: v_dual_add_f32 v60, v102, v141
	v_fmac_f32_e32 v37, 0x3e9e377a, v62
	v_add_f32_e32 v62, v147, v146
	v_dual_fmac_f32 v56, 0x3f167918, v101 :: v_dual_add_f32 v63, v63, v100
	v_fma_f32 v100, -0.5, v103, v0
	v_dual_fmac_f32 v9, 0xbf167918, v101 :: v_dual_add_f32 v60, v60, v144
	v_dual_sub_f32 v103, v147, v141 :: v_dual_sub_f32 v106, v146, v144
	v_fmac_f32_e32 v0, -0.5, v62
	v_fmac_f32_e32 v56, 0x3e9e377a, v63
	v_fmamk_f32 v101, v104, 0xbf737871, v100
	v_dual_fmac_f32 v9, 0x3e9e377a, v63 :: v_dual_add_f32 v102, v60, v146
	v_add_f32_e32 v60, v103, v106
	v_fmac_f32_e32 v100, 0x3f737871, v104
	v_fmamk_f32 v103, v105, 0x3f737871, v0
	v_dual_sub_f32 v62, v141, v147 :: v_dual_sub_f32 v63, v144, v146
	v_add_f32_e32 v106, v132, v114
	v_fmac_f32_e32 v0, 0xbf737871, v105
	v_dual_fmac_f32 v28, v113, v108 :: v_dual_fmac_f32 v101, 0xbf167918, v105
	v_fmac_f32_e32 v100, 0x3f167918, v105
	v_dual_fmac_f32 v103, 0xbf167918, v104 :: v_dual_add_f32 v62, v62, v63
	v_add_f32_e32 v63, v8, v130
	v_fma_f32 v106, -0.5, v106, v8
	v_dual_sub_f32 v105, v140, v131 :: v_dual_sub_f32 v108, v130, v132
	v_fmac_f32_e32 v0, 0x3f167918, v104
	v_dual_fmac_f32 v8, -0.5, v110 :: v_dual_fmac_f32 v101, 0x3e9e377a, v60
	v_dual_fmac_f32 v100, 0x3e9e377a, v60 :: v_dual_fmac_f32 v103, 0x3e9e377a, v62
	v_add_f32_e32 v60, v63, v132
	v_dual_fmamk_f32 v63, v107, 0x3f737871, v106 :: v_dual_add_f32 v104, v108, v109
	v_fmac_f32_e32 v0, 0x3e9e377a, v62
	v_dual_fmac_f32 v106, 0xbf737871, v107 :: v_dual_add_f32 v121, v33, v34
	v_fmamk_f32 v62, v105, 0xbf737871, v8
	v_dual_sub_f32 v108, v132, v130 :: v_dual_sub_f32 v109, v114, v116
	v_add_f32_e32 v110, v11, v139
	v_fmac_f32_e32 v8, 0x3f737871, v105
	v_fmac_f32_e32 v63, 0x3f167918, v105
	v_fmac_f32_e32 v106, 0xbf167918, v105
	v_fmac_f32_e32 v62, 0x3f167918, v107
	v_dual_add_f32 v108, v108, v109 :: v_dual_add_f32 v105, v110, v140
	v_fma_f32 v109, -0.5, v111, v11
	v_sub_f32_e32 v110, v130, v116
	v_dual_fmac_f32 v8, 0xbf167918, v107 :: v_dual_add_f32 v107, v139, v133
	v_dual_sub_f32 v113, v133, v131 :: v_dual_add_f32 v60, v60, v114
	v_fmac_f32_e32 v63, 0x3e9e377a, v104
	v_fmac_f32_e32 v106, 0x3e9e377a, v104
	v_dual_add_f32 v104, v105, v131 :: v_dual_fmamk_f32 v105, v110, 0xbf737871, v109
	v_sub_f32_e32 v111, v132, v114
	v_fmac_f32_e32 v11, -0.5, v107
	v_add_f32_e32 v107, v112, v113
	v_dual_fmac_f32 v109, 0x3f737871, v110 :: v_dual_sub_f32 v112, v140, v139
	v_dual_sub_f32 v113, v131, v133 :: v_dual_add_f32 v114, v42, v59
	v_add_f32_e32 v60, v60, v116
	v_fmac_f32_e32 v62, 0x3e9e377a, v108
	v_fmac_f32_e32 v8, 0x3e9e377a, v108
	;; [unrolled: 1-line block ×3, first 2 shown]
	v_fmamk_f32 v108, v111, 0x3f737871, v11
	v_dual_fmac_f32 v109, 0x3f167918, v111 :: v_dual_add_f32 v112, v112, v113
	v_add_f32_e32 v113, v5, v57
	v_fma_f32 v114, -0.5, v114, v5
	v_dual_sub_f32 v116, v38, v126 :: v_dual_fmac_f32 v11, 0xbf737871, v111
	v_dual_add_f32 v58, v58, v145 :: v_dual_fmac_f32 v105, 0x3e9e377a, v107
	v_fmac_f32_e32 v108, 0xbf167918, v110
	v_fmac_f32_e32 v109, 0x3e9e377a, v107
	v_add_f32_e32 v107, v113, v42
	v_fmamk_f32 v111, v116, 0x3f737871, v114
	v_sub_f32_e32 v113, v36, v115
	v_dual_sub_f32 v118, v61, v59 :: v_dual_fmac_f32 v11, 0x3f167918, v110
	v_dual_fmac_f32 v5, -0.5, v119 :: v_dual_fmac_f32 v114, 0xbf737871, v116
	v_add_f32_e32 v119, v1, v38
	s_delay_alu instid0(VALU_DEP_4)
	v_dual_add_f32 v58, v58, v122 :: v_dual_fmac_f32 v111, 0x3f167918, v113
	v_dual_fmac_f32 v108, 0x3e9e377a, v112 :: v_dual_add_f32 v107, v107, v59
	v_dual_add_f32 v110, v117, v118 :: v_dual_fmac_f32 v11, 0x3e9e377a, v112
	v_dual_fmamk_f32 v112, v113, 0xbf737871, v5 :: v_dual_sub_f32 v117, v42, v57
	v_sub_f32_e32 v118, v59, v61
	v_fmac_f32_e32 v114, 0xbf167918, v113
	v_dual_add_f32 v120, v36, v115 :: v_dual_fmac_f32 v5, 0x3f737871, v113
	v_add_f32_e32 v113, v119, v36
	v_add_f32_e32 v107, v107, v61
	v_add_f32_e32 v117, v117, v118
	s_delay_alu instid0(VALU_DEP_4)
	v_fma_f32 v118, -0.5, v120, v1
	v_sub_f32_e32 v57, v57, v61
	v_add_f32_e32 v61, v113, v115
	v_add_f32_e32 v113, v38, v126
	v_fmac_f32_e32 v111, 0x3e9e377a, v110
	v_fmac_f32_e32 v112, 0x3f167918, v116
	;; [unrolled: 1-line block ×4, first 2 shown]
	v_fmamk_f32 v110, v57, 0xbf737871, v118
	v_sub_f32_e32 v42, v42, v59
	v_sub_f32_e32 v59, v38, v36
	v_dual_sub_f32 v116, v126, v115 :: v_dual_fmac_f32 v1, -0.5, v113
	v_dual_add_f32 v113, v61, v126 :: v_dual_fmac_f32 v118, 0x3f737871, v57
	v_sub_f32_e32 v36, v36, v38
	v_sub_f32_e32 v38, v115, v126
	v_dual_add_f32 v61, v39, v40 :: v_dual_fmac_f32 v110, 0xbf167918, v42
	s_delay_alu instid0(VALU_DEP_4) | instskip(NEXT) | instid1(VALU_DEP_3)
	v_dual_add_f32 v59, v59, v116 :: v_dual_fmac_f32 v118, 0x3f167918, v42
	v_add_f32_e32 v36, v36, v38
	v_add_f32_e32 v38, v7, v43
	s_delay_alu instid0(VALU_DEP_4)
	v_fma_f32 v61, -0.5, v61, v7
	v_dual_sub_f32 v115, v31, v35 :: v_dual_fmac_f32 v112, 0x3e9e377a, v117
	v_fmac_f32_e32 v5, 0x3e9e377a, v117
	v_fmamk_f32 v116, v42, 0x3f737871, v1
	v_fmac_f32_e32 v110, 0x3e9e377a, v59
	v_fmac_f32_e32 v118, 0x3e9e377a, v59
	v_dual_fmac_f32 v1, 0xbf737871, v42 :: v_dual_add_f32 v38, v38, v39
	v_dual_fmamk_f32 v42, v115, 0x3f737871, v61 :: v_dual_sub_f32 v59, v33, v34
	v_sub_f32_e32 v117, v43, v39
	v_sub_f32_e32 v119, v55, v40
	v_add_f32_e32 v120, v43, v55
	v_fmac_f32_e32 v61, 0xbf737871, v115
	v_fmac_f32_e32 v116, 0xbf167918, v57
	v_dual_fmac_f32 v1, 0x3f167918, v57 :: v_dual_add_f32 v38, v38, v40
	v_fmac_f32_e32 v42, 0x3f167918, v59
	v_add_f32_e32 v57, v117, v119
	v_fmac_f32_e32 v7, -0.5, v120
	v_sub_f32_e32 v117, v39, v43
	v_sub_f32_e32 v119, v40, v55
	v_fmac_f32_e32 v61, 0xbf167918, v59
	v_add_f32_e32 v120, v16, v31
	v_fmac_f32_e32 v116, 0x3e9e377a, v36
	v_dual_fmac_f32 v1, 0x3e9e377a, v36 :: v_dual_add_f32 v36, v38, v55
	v_fmac_f32_e32 v42, 0x3e9e377a, v57
	v_dual_fmamk_f32 v38, v59, 0xbf737871, v7 :: v_dual_add_f32 v117, v117, v119
	v_fmac_f32_e32 v7, 0x3f737871, v59
	v_add_f32_e32 v59, v120, v33
	v_fma_f32 v119, -0.5, v121, v16
	v_sub_f32_e32 v43, v43, v55
	v_fmac_f32_e32 v61, 0x3e9e377a, v57
	v_add_f32_e32 v57, v31, v35
	v_fmac_f32_e32 v38, 0x3f167918, v115
	v_fmac_f32_e32 v7, 0xbf167918, v115
	v_add_f32_e32 v55, v59, v34
	v_dual_fmamk_f32 v115, v43, 0xbf737871, v119 :: v_dual_add_f32 v104, v104, v133
	v_sub_f32_e32 v59, v35, v34
	v_sub_f32_e32 v39, v39, v40
	;; [unrolled: 1-line block ×3, first 2 shown]
	v_dual_fmac_f32 v16, -0.5, v57 :: v_dual_fmac_f32 v119, 0x3f737871, v43
	v_sub_f32_e32 v31, v33, v31
	v_dual_sub_f32 v33, v34, v35 :: v_dual_add_f32 v34, v24, v30
	v_fmac_f32_e32 v38, 0x3e9e377a, v117
	v_fmac_f32_e32 v7, 0x3e9e377a, v117
	v_add_f32_e32 v117, v55, v35
	v_fmac_f32_e32 v115, 0xbf167918, v39
	v_add_f32_e32 v40, v40, v59
	v_fmamk_f32 v120, v39, 0x3f737871, v16
	v_fmac_f32_e32 v119, 0x3f167918, v39
	v_dual_add_f32 v31, v31, v33 :: v_dual_fmac_f32 v16, 0xbf737871, v39
	v_add_f32_e32 v33, v6, v29
	v_fma_f32 v34, -0.5, v34, v6
	v_sub_f32_e32 v35, v17, v28
	v_fmac_f32_e32 v115, 0x3e9e377a, v40
	v_fmac_f32_e32 v120, 0xbf167918, v43
	;; [unrolled: 1-line block ×3, first 2 shown]
	v_dual_fmac_f32 v16, 0x3f167918, v43 :: v_dual_add_f32 v33, v33, v24
	v_dual_fmamk_f32 v39, v35, 0x3f737871, v34 :: v_dual_sub_f32 v40, v18, v25
	v_sub_f32_e32 v43, v29, v24
	v_dual_sub_f32 v55, v32, v30 :: v_dual_fmac_f32 v34, 0xbf737871, v35
	v_add_f32_e32 v57, v29, v32
	v_add_f32_e32 v33, v33, v30
	v_fmac_f32_e32 v39, 0x3f167918, v40
	s_delay_alu instid0(VALU_DEP_4) | instskip(NEXT) | instid1(VALU_DEP_4)
	v_dual_add_f32 v43, v43, v55 :: v_dual_fmac_f32 v34, 0xbf167918, v40
	v_fmac_f32_e32 v6, -0.5, v57
	v_fmac_f32_e32 v120, 0x3e9e377a, v31
	v_dual_fmac_f32 v16, 0x3e9e377a, v31 :: v_dual_add_f32 v31, v33, v32
	s_delay_alu instid0(VALU_DEP_4)
	v_fmac_f32_e32 v39, 0x3e9e377a, v43
	v_fmac_f32_e32 v34, 0x3e9e377a, v43
	v_fmamk_f32 v33, v40, 0xbf737871, v6
	v_add_f32_e32 v43, v18, v25
	v_sub_f32_e32 v55, v24, v29
	v_sub_f32_e32 v57, v30, v32
	v_fmac_f32_e32 v6, 0x3f737871, v40
	v_add_f32_e32 v40, v15, v17
	v_fma_f32 v121, -0.5, v43, v15
	v_sub_f32_e32 v29, v29, v32
	v_dual_fmac_f32 v33, 0x3f167918, v35 :: v_dual_add_f32 v32, v55, v57
	s_delay_alu instid0(VALU_DEP_4) | instskip(SKIP_1) | instid1(VALU_DEP_4)
	v_dual_fmac_f32 v6, 0xbf167918, v35 :: v_dual_add_f32 v35, v40, v18
	v_add_f32_e32 v40, v17, v28
	v_fmamk_f32 v122, v29, 0xbf737871, v121
	s_delay_alu instid0(VALU_DEP_4) | instskip(NEXT) | instid1(VALU_DEP_4)
	v_dual_sub_f32 v24, v24, v30 :: v_dual_fmac_f32 v33, 0x3e9e377a, v32
	v_fmac_f32_e32 v6, 0x3e9e377a, v32
	s_delay_alu instid0(VALU_DEP_4) | instskip(SKIP_3) | instid1(VALU_DEP_4)
	v_dual_add_f32 v30, v35, v25 :: v_dual_fmac_f32 v15, -0.5, v40
	v_dual_sub_f32 v32, v17, v18 :: v_dual_sub_f32 v35, v28, v25
	v_fmac_f32_e32 v121, 0x3f737871, v29
	v_fmac_f32_e32 v122, 0xbf167918, v24
	v_fmamk_f32 v123, v24, 0x3f737871, v15
	v_dual_sub_f32 v17, v18, v17 :: v_dual_sub_f32 v18, v25, v28
	v_fmac_f32_e32 v15, 0xbf737871, v24
	v_add_f32_e32 v25, v32, v35
	v_fmac_f32_e32 v121, 0x3f167918, v24
	global_inv scope:SCOPE_SE
	ds_store_2addr_b32 v52, v26, v22 offset1:10
	ds_store_2addr_b32 v52, v27, v10 offset0:20 offset1:30
	ds_store_b32 v52, v19 offset:160
	ds_store_2addr_b32 v46, v58, v41 offset1:10
	v_lshl_add_u32 v10, v88, 2, v4
	ds_store_2addr_b32 v46, v56, v9 offset0:20 offset1:30
	ds_store_b32 v46, v37 offset:160
	ds_store_2addr_b32 v52, v60, v63 offset0:50 offset1:60
	ds_store_b32 v52, v62 offset:280
	ds_store_b32 v10, v8
	ds_store_b32 v52, v106 offset:360
	v_lshl_add_u32 v8, v13, 2, v4
	v_lshl_add_u32 v4, v14, 2, v4
	v_fmac_f32_e32 v123, 0xbf167918, v29
	v_add_f32_e32 v17, v17, v18
	v_dual_fmac_f32 v15, 0x3f167918, v29 :: v_dual_add_f32 v18, v30, v28
	v_fmac_f32_e32 v122, 0x3e9e377a, v25
	v_fmac_f32_e32 v121, 0x3e9e377a, v25
	ds_store_2addr_b32 v46, v107, v111 offset0:50 offset1:60
	ds_store_2addr_b32 v46, v112, v5 offset0:70 offset1:80
	v_fmac_f32_e32 v15, 0x3e9e377a, v17
	ds_store_b32 v46, v114 offset:360
	ds_store_2addr_b32 v8, v36, v42 offset0:100 offset1:110
	ds_store_2addr_b32 v8, v38, v7 offset0:120 offset1:130
	ds_store_b32 v8, v61 offset:560
	ds_store_2addr_b32 v4, v31, v39 offset0:100 offset1:110
	ds_store_2addr_b32 v4, v33, v6 offset0:120 offset1:130
	ds_store_b32 v4, v34 offset:560
	global_wb scope:SCOPE_SE
	s_wait_dscnt 0x0
	s_barrier_signal -1
	s_barrier_wait -1
	global_inv scope:SCOPE_SE
	ds_load_b32 v55, v44
	ds_load_2addr_b32 v[24:25], v52 offset0:50 offset1:55
	ds_load_2addr_b32 v[28:29], v52 offset0:60 offset1:65
	;; [unrolled: 1-line block ×6, first 2 shown]
	ds_load_b32 v59, v53
	ds_load_b32 v60, v54
	;; [unrolled: 1-line block ×9, first 2 shown]
	ds_load_2addr_b32 v[38:39], v52 offset0:80 offset1:85
	ds_load_2addr_b32 v[36:37], v52 offset0:130 offset1:135
	;; [unrolled: 1-line block ×4, first 2 shown]
	v_fmac_f32_e32 v123, 0x3e9e377a, v17
	global_wb scope:SCOPE_SE
	s_wait_dscnt 0x0
	s_barrier_signal -1
	s_barrier_wait -1
	global_inv scope:SCOPE_SE
	ds_store_2addr_b32 v52, v98, v3 offset1:10
	ds_store_2addr_b32 v52, v99, v12 offset0:20 offset1:30
	ds_store_b32 v52, v2 offset:160
	ds_store_2addr_b32 v46, v102, v101 offset1:10
	ds_store_2addr_b32 v46, v103, v0 offset0:20 offset1:30
	ds_store_b32 v46, v100 offset:160
	ds_store_2addr_b32 v52, v104, v105 offset0:50 offset1:60
	ds_store_b32 v52, v108 offset:280
	ds_store_b32 v10, v11
	ds_store_b32 v52, v109 offset:360
	ds_store_2addr_b32 v46, v113, v110 offset0:50 offset1:60
	ds_store_2addr_b32 v46, v116, v1 offset0:70 offset1:80
	ds_store_b32 v46, v118 offset:360
	ds_store_2addr_b32 v8, v117, v115 offset0:100 offset1:110
	ds_store_2addr_b32 v8, v120, v16 offset0:120 offset1:130
	;; [unrolled: 3-line block ×3, first 2 shown]
	ds_store_b32 v4, v121 offset:560
	global_wb scope:SCOPE_SE
	s_wait_dscnt 0x0
	s_barrier_signal -1
	s_barrier_wait -1
	global_inv scope:SCOPE_SE
	s_and_saveexec_b32 s0, vcc_lo
	s_cbranch_execz .LBB0_14
; %bb.13:
	v_mad_co_u64_u32 v[116:117], null, s8, v82, 0
	v_lshlrev_b32_e32 v22, 1, v97
	v_mad_co_u64_u32 v[118:119], null, s8, v85, 0
	v_mad_co_u64_u32 v[120:121], null, s8, v87, 0
	s_delay_alu instid0(VALU_DEP_3) | instskip(SKIP_3) | instid1(VALU_DEP_3)
	v_lshlrev_b64_e32 v[0:1], 3, v[22:23]
	v_lshlrev_b32_e32 v22, 1, v96
	v_mad_co_u64_u32 v[122:123], null, s8, v81, 0
	v_mad_co_u64_u32 v[124:125], null, s8, v86, 0
	v_lshlrev_b64_e32 v[2:3], 3, v[22:23]
	v_lshlrev_b32_e32 v22, 1, v95
	v_add_co_u32 v0, vcc_lo, s4, v0
	s_wait_alu 0xfffd
	v_add_co_ci_u32_e32 v1, vcc_lo, s5, v1, vcc_lo
	s_delay_alu instid0(VALU_DEP_3)
	v_lshlrev_b64_e32 v[8:9], 3, v[22:23]
	v_lshlrev_b32_e32 v22, 1, v94
	v_mad_co_u64_u32 v[128:129], null, s8, v80, 0
	global_load_b128 v[4:7], v[0:1], off offset:320
	v_add_co_u32 v0, vcc_lo, s4, v2
	s_wait_alu 0xfffd
	v_add_co_ci_u32_e32 v1, vcc_lo, s5, v3, vcc_lo
	v_add_co_u32 v8, vcc_lo, s4, v8
	s_wait_alu 0xfffd
	v_add_co_ci_u32_e32 v9, vcc_lo, s5, v9, vcc_lo
	global_load_b128 v[0:3], v[0:1], off offset:320
	v_mad_co_u64_u32 v[126:127], null, s8, v84, 0
	global_load_b128 v[16:19], v[8:9], off offset:320
	v_lshlrev_b64_e32 v[8:9], 3, v[22:23]
	v_lshlrev_b32_e32 v22, 1, v93
	s_delay_alu instid0(VALU_DEP_1) | instskip(SKIP_1) | instid1(VALU_DEP_4)
	v_lshlrev_b64_e32 v[12:13], 3, v[22:23]
	v_lshlrev_b32_e32 v22, 1, v92
	v_add_co_u32 v8, vcc_lo, s4, v8
	s_wait_alu 0xfffd
	v_add_co_ci_u32_e32 v9, vcc_lo, s5, v9, vcc_lo
	s_delay_alu instid0(VALU_DEP_3) | instskip(SKIP_4) | instid1(VALU_DEP_4)
	v_lshlrev_b64_e32 v[92:93], 3, v[22:23]
	v_add_co_u32 v12, vcc_lo, s4, v12
	s_wait_alu 0xfffd
	v_add_co_ci_u32_e32 v13, vcc_lo, s5, v13, vcc_lo
	v_lshlrev_b32_e32 v22, 1, v91
	v_add_co_u32 v92, vcc_lo, s4, v92
	s_wait_alu 0xfffd
	v_add_co_ci_u32_e32 v93, vcc_lo, s5, v93, vcc_lo
	s_delay_alu instid0(VALU_DEP_3)
	v_lshlrev_b64_e32 v[96:97], 3, v[22:23]
	v_lshlrev_b32_e32 v22, 1, v90
	s_clause 0x2
	global_load_b128 v[8:11], v[8:9], off offset:320
	global_load_b128 v[12:15], v[12:13], off offset:320
	;; [unrolled: 1-line block ×3, first 2 shown]
	v_lshlrev_b64_e32 v[90:91], 3, v[22:23]
	v_add_co_u32 v96, vcc_lo, s4, v96
	s_wait_alu 0xfffd
	v_add_co_ci_u32_e32 v97, vcc_lo, s5, v97, vcc_lo
	s_delay_alu instid0(VALU_DEP_3)
	v_add_co_u32 v90, vcc_lo, s4, v90
	s_wait_alu 0xfffd
	v_add_co_ci_u32_e32 v91, vcc_lo, s5, v91, vcc_lo
	s_clause 0x1
	global_load_b128 v[96:99], v[96:97], off offset:320
	global_load_b128 v[100:103], v[90:91], off offset:320
	v_mov_b32_e32 v91, v117
	v_mov_b32_e32 v117, v119
	;; [unrolled: 1-line block ×5, first 2 shown]
	s_wait_loadcnt 0x2
	v_mad_co_u64_u32 v[130:131], null, s9, v82, v[91:92]
	v_mad_co_u64_u32 v[131:132], null, s9, v85, v[117:118]
	;; [unrolled: 1-line block ×3, first 2 shown]
	v_lshlrev_b32_e32 v22, 1, v89
	v_mad_co_u64_u32 v[133:134], null, s9, v81, v[121:122]
	v_mad_co_u64_u32 v[86:87], null, s9, v86, v[123:124]
	v_mov_b32_e32 v85, v129
	v_mov_b32_e32 v121, v132
	v_lshlrev_b64_e32 v[89:90], 3, v[22:23]
	v_dual_mov_b32 v123, v133 :: v_dual_lshlrev_b32 v22, 1, v82
	v_dual_mov_b32 v82, v127 :: v_dual_mov_b32 v125, v86
	v_mad_co_u64_u32 v[134:135], null, s8, v83, 0
	s_delay_alu instid0(VALU_DEP_3) | instskip(SKIP_4) | instid1(VALU_DEP_4)
	v_lshlrev_b64_e32 v[22:23], 3, v[22:23]
	v_add_co_u32 v89, vcc_lo, s4, v89
	s_wait_alu 0xfffd
	v_add_co_ci_u32_e32 v90, vcc_lo, s5, v90, vcc_lo
	v_mad_co_u64_u32 v[81:82], null, s9, v84, v[82:83]
	v_add_co_u32 v22, vcc_lo, s4, v22
	global_load_b128 v[104:107], v[89:90], off offset:320
	s_wait_alu 0xfffd
	v_add_co_ci_u32_e32 v23, vcc_lo, s5, v23, vcc_lo
	v_mad_co_u64_u32 v[84:85], null, s9, v80, v[85:86]
	v_mov_b32_e32 v117, v130
	global_load_b128 v[108:111], v[22:23], off offset:320
	ds_load_2addr_b32 v[22:23], v52 offset0:90 offset1:95
	ds_load_2addr_b32 v[89:90], v52 offset0:140 offset1:145
	ds_load_2addr_b32 v[112:113], v52 offset0:80 offset1:85
	ds_load_2addr_b32 v[114:115], v52 offset0:130 offset1:135
	ds_load_2addr_b32 v[136:137], v52 offset0:70 offset1:75
	ds_load_2addr_b32 v[138:139], v52 offset0:120 offset1:125
	v_mov_b32_e32 v119, v131
	ds_load_b32 v87, v54
	ds_load_b32 v91, v53
	ds_load_2addr_b32 v[53:54], v52 offset0:50 offset1:55
	ds_load_2addr_b32 v[130:131], v52 offset0:60 offset1:65
	;; [unrolled: 1-line block ×4, first 2 shown]
	v_dual_mov_b32 v129, v84 :: v_dual_mov_b32 v80, v135
	v_mov_b32_e32 v127, v81
	v_add_co_u32 v20, vcc_lo, s10, v20
	s_wait_alu 0xfffd
	v_add_co_ci_u32_e32 v21, vcc_lo, s11, v21, vcc_lo
	v_mad_co_u64_u32 v[82:83], null, s9, v83, v[80:81]
	s_wait_dscnt 0xb
	v_mul_f32_e32 v52, v23, v5
	s_wait_dscnt 0xa
	v_dual_mul_f32 v84, v90, v7 :: v_dual_mul_f32 v5, v43, v5
	v_mul_f32_e32 v7, v41, v7
	v_lshlrev_b64_e32 v[80:81], 3, v[116:117]
	v_fma_f32 v43, v43, v4, -v52
	s_delay_alu instid0(VALU_DEP_4)
	v_fma_f32 v41, v41, v6, -v84
	v_dual_fmac_f32 v5, v4, v23 :: v_dual_mul_f32 v4, v22, v1
	v_fmac_f32_e32 v7, v6, v90
	ds_load_b32 v6, v51
	v_mov_b32_e32 v135, v82
	v_lshlrev_b64_e32 v[82:83], 3, v[118:119]
	v_lshlrev_b64_e32 v[118:119], 3, v[122:123]
	;; [unrolled: 1-line block ×3, first 2 shown]
	v_mad_co_u64_u32 v[126:127], null, s8, v79, 0
	v_mad_co_u64_u32 v[51:52], null, s8, v76, 0
	v_lshlrev_b64_e32 v[116:117], 3, v[120:121]
	v_lshlrev_b64_e32 v[120:121], 3, v[124:125]
	;; [unrolled: 1-line block ×3, first 2 shown]
	v_fma_f32 v4, v42, v0, -v4
	v_dual_mul_f32 v42, v42, v1 :: v_dual_mul_f32 v23, v89, v3
	ds_load_b32 v50, v50
	ds_load_b32 v49, v49
	;; [unrolled: 1-line block ×7, first 2 shown]
	v_mul_f32_e32 v44, v40, v3
	v_sub_f32_e32 v46, v43, v41
	v_fmac_f32_e32 v42, v0, v22
	v_fma_f32 v40, v40, v2, -v23
	s_delay_alu instid0(VALU_DEP_4)
	v_dual_mov_b32 v23, v127 :: v_dual_fmac_f32 v44, v2, v89
	v_mov_b32_e32 v22, v52
	v_dual_add_f32 v0, v5, v7 :: v_dual_add_f32 v3, v43, v41
	s_wait_dscnt 0x7
	v_add_f32_e32 v2, v5, v6
	v_sub_f32_e32 v48, v5, v7
	v_add_f32_e32 v5, v88, v43
	v_dual_mul_f32 v43, v113, v17 :: v_dual_mul_f32 v52, v115, v19
	v_fma_f32 v1, -0.5, v0, v6
	v_fma_f32 v0, -0.5, v3, v88
	v_dual_mul_f32 v88, v39, v17 :: v_dual_mul_f32 v19, v37, v19
	v_dual_add_f32 v3, v7, v2 :: v_dual_add_f32 v2, v5, v41
	v_add_f32_e32 v5, v42, v44
	v_fma_f32 v39, v39, v16, -v43
	v_fma_f32 v37, v37, v18, -v52
	v_dual_fmac_f32 v88, v16, v113 :: v_dual_fmac_f32 v19, v18, v115
	s_wait_dscnt 0x5
	v_add_f32_e32 v16, v42, v49
	v_add_f32_e32 v6, v4, v40
	v_dual_sub_f32 v18, v42, v44 :: v_dual_mul_f32 v43, v112, v9
	v_fma_f32 v7, -0.5, v5, v49
	v_fmamk_f32 v5, v46, 0x3f5db3d7, v1
	v_dual_fmac_f32 v1, 0xbf5db3d7, v46 :: v_dual_mul_f32 v52, v114, v11
	v_add_f32_e32 v17, v44, v16
	v_sub_f32_e32 v41, v4, v40
	v_add_f32_e32 v42, v63, v4
	v_fma_f32 v6, -0.5, v6, v63
	v_mul_f32_e32 v46, v38, v9
	v_fmamk_f32 v4, v48, 0xbf5db3d7, v0
	v_fmac_f32_e32 v0, 0x3f5db3d7, v48
	v_dual_mul_f32 v48, v36, v11 :: v_dual_mul_f32 v63, v33, v13
	v_fma_f32 v38, v38, v8, -v43
	v_fma_f32 v49, v36, v10, -v52
	v_dual_add_f32 v11, v88, v19 :: v_dual_add_f32 v16, v42, v40
	s_delay_alu instid0(VALU_DEP_4)
	v_dual_add_f32 v43, v39, v37 :: v_dual_fmac_f32 v48, v10, v114
	v_fmac_f32_e32 v63, v12, v137
	v_mul_f32_e32 v36, v137, v13
	v_dual_fmamk_f32 v9, v41, 0x3f5db3d7, v7 :: v_dual_fmac_f32 v46, v8, v112
	v_fmac_f32_e32 v7, 0xbf5db3d7, v41
	v_add_f32_e32 v41, v38, v49
	v_dual_sub_f32 v40, v39, v37 :: v_dual_add_f32 v39, v62, v39
	s_wait_dscnt 0x3
	v_add_f32_e32 v42, v88, v47
	v_mul_f32_e32 v52, v139, v15
	v_fma_f32 v11, -0.5, v11, v47
	v_fmamk_f32 v8, v18, 0xbf5db3d7, v6
	v_dual_fmac_f32 v6, 0x3f5db3d7, v18 :: v_dual_mul_f32 v47, v138, v95
	v_fma_f32 v33, v33, v12, -v36
	v_add_f32_e32 v18, v39, v37
	v_dual_sub_f32 v37, v38, v49 :: v_dual_sub_f32 v44, v88, v19
	v_add_f32_e32 v19, v19, v42
	v_mul_f32_e32 v88, v35, v15
	v_fma_f32 v10, -0.5, v43, v62
	v_add_f32_e32 v15, v46, v48
	v_fmamk_f32 v13, v40, 0x3f5db3d7, v11
	s_wait_dscnt 0x1
	v_add_f32_e32 v39, v46, v45
	v_sub_f32_e32 v42, v46, v48
	v_fma_f32 v43, v35, v14, -v52
	v_fmac_f32_e32 v88, v14, v139
	v_mul_f32_e32 v46, v136, v93
	v_mul_f32_e32 v52, v32, v93
	;; [unrolled: 1-line block ×3, first 2 shown]
	v_fma_f32 v34, v34, v94, -v47
	s_wait_loadcnt 0x3
	v_dual_mul_f32 v47, v131, v97 :: v_dual_add_f32 v38, v61, v38
	v_fma_f32 v15, -0.5, v15, v45
	v_sub_f32_e32 v45, v63, v88
	v_fma_f32 v14, -0.5, v41, v61
	v_mul_f32_e32 v61, v29, v97
	v_add_f32_e32 v35, v38, v49
	v_fmac_f32_e32 v62, v94, v138
	v_mul_f32_e32 v49, v86, v99
	v_fma_f32 v46, v32, v92, -v46
	v_fmac_f32_e32 v61, v96, v131
	v_add_f32_e32 v36, v48, v39
	v_dual_add_f32 v39, v63, v87 :: v_dual_add_f32 v48, v60, v33
	v_add_f32_e32 v38, v63, v88
	v_dual_mul_f32 v63, v31, v99 :: v_dual_fmac_f32 v52, v92, v136
	v_dual_fmac_f32 v11, 0xbf5db3d7, v40 :: v_dual_fmamk_f32 v12, v44, 0xbf5db3d7, v10
	v_dual_fmac_f32 v10, 0x3f5db3d7, v44 :: v_dual_sub_f32 v41, v33, v43
	v_add_f32_e32 v40, v88, v39
	v_fma_f32 v29, v29, v96, -v47
	v_fma_f32 v47, v31, v98, -v49
	v_fmac_f32_e32 v63, v98, v86
	v_add_f32_e32 v39, v48, v43
	v_fma_f32 v38, -0.5, v38, v87
	v_add_f32_e32 v87, v46, v34
	s_wait_loadcnt 0x2
	v_dual_mul_f32 v31, v130, v101 :: v_dual_add_f32 v44, v33, v43
	v_add_f32_e32 v43, v52, v62
	v_fmamk_f32 v33, v37, 0x3f5db3d7, v15
	v_dual_fmac_f32 v15, 0xbf5db3d7, v37 :: v_dual_fmamk_f32 v32, v42, 0xbf5db3d7, v14
	v_dual_mul_f32 v49, v85, v103 :: v_dual_fmac_f32 v14, 0x3f5db3d7, v42
	v_mul_f32_e32 v89, v30, v103
	v_fma_f32 v37, -0.5, v44, v60
	v_add_f32_e32 v60, v52, v91
	v_add_f32_e32 v88, v59, v46
	v_mul_f32_e32 v86, v28, v101
	v_fma_f32 v44, -0.5, v43, v91
	v_fma_f32 v43, -0.5, v87, v59
	v_add_f32_e32 v87, v58, v29
	v_sub_f32_e32 v48, v46, v34
	v_dual_sub_f32 v52, v52, v62 :: v_dual_add_f32 v59, v61, v63
	v_add_f32_e32 v46, v62, v60
	v_add_f32_e32 v60, v61, v50
	;; [unrolled: 1-line block ×3, first 2 shown]
	v_sub_f32_e32 v61, v61, v63
	v_fmamk_f32 v42, v41, 0x3f5db3d7, v38
	v_dual_fmac_f32 v38, 0xbf5db3d7, v41 :: v_dual_fmamk_f32 v41, v45, 0xbf5db3d7, v37
	v_fmac_f32_e32 v37, 0x3f5db3d7, v45
	v_dual_add_f32 v45, v88, v34 :: v_dual_sub_f32 v34, v29, v47
	v_fmac_f32_e32 v89, v102, v85
	v_fma_f32 v88, v28, v100, -v31
	v_fma_f32 v91, v30, v102, -v49
	v_fmamk_f32 v29, v48, 0x3f5db3d7, v44
	v_fmamk_f32 v28, v52, 0xbf5db3d7, v43
	v_fmac_f32_e32 v43, 0x3f5db3d7, v52
	v_fma_f32 v31, -0.5, v59, v50
	v_fma_f32 v30, -0.5, v62, v58
	v_sub_f32_e32 v52, v88, v91
	v_add_co_u32 v80, vcc_lo, v20, v80
	s_wait_alu 0xfffd
	v_add_co_ci_u32_e32 v81, vcc_lo, v21, v81, vcc_lo
	v_add_co_u32 v82, vcc_lo, v20, v82
	s_wait_alu 0xfffd
	v_add_co_ci_u32_e32 v83, vcc_lo, v21, v83, vcc_lo
	;; [unrolled: 3-line block ×7, first 2 shown]
	v_add_f32_e32 v47, v87, v47
	s_wait_loadcnt 0x1
	v_dual_mul_f32 v85, v133, v107 :: v_dual_fmac_f32 v86, v100, v130
	v_dual_mul_f32 v92, v25, v105 :: v_dual_mul_f32 v93, v27, v107
	v_dual_mul_f32 v49, v54, v105 :: v_dual_fmac_f32 v44, 0xbf5db3d7, v48
	v_add_f32_e32 v48, v63, v60
	s_delay_alu instid0(VALU_DEP_4)
	v_add_f32_e32 v58, v86, v89
	v_add_f32_e32 v59, v86, v84
	v_dual_sub_f32 v63, v86, v89 :: v_dual_add_f32 v86, v57, v88
	s_wait_loadcnt 0x0
	v_mul_f32_e32 v87, v24, v109
	v_fma_f32 v85, v27, v106, -v85
	v_dual_fmac_f32 v92, v104, v54 :: v_dual_fmac_f32 v93, v106, v133
	v_dual_mul_f32 v27, v53, v109 :: v_dual_mul_f32 v54, v132, v111
	v_fma_f32 v25, v25, v104, -v49
	v_fmamk_f32 v49, v61, 0xbf5db3d7, v30
	v_fmac_f32_e32 v30, 0x3f5db3d7, v61
	v_dual_add_f32 v60, v89, v59 :: v_dual_fmac_f32 v87, v108, v53
	v_add_f32_e32 v59, v86, v91
	v_add_f32_e32 v61, v92, v93
	v_fma_f32 v54, v26, v110, -v54
	v_add_f32_e32 v62, v88, v91
	v_mul_f32_e32 v88, v26, v111
	v_fma_f32 v91, v24, v108, -v27
	v_fma_f32 v27, -0.5, v61, v90
	v_dual_fmamk_f32 v50, v34, 0x3f5db3d7, v31 :: v_dual_sub_f32 v89, v92, v93
	v_fma_f32 v58, -0.5, v58, v84
	s_delay_alu instid0(VALU_DEP_4) | instskip(SKIP_4) | instid1(VALU_DEP_4)
	v_sub_f32_e32 v61, v91, v54
	v_fma_f32 v57, -0.5, v62, v57
	v_add_f32_e32 v62, v92, v90
	v_add_f32_e32 v86, v56, v25
	v_dual_fmac_f32 v88, v110, v132 :: v_dual_fmac_f32 v31, 0xbf5db3d7, v34
	v_fmamk_f32 v24, v63, 0xbf5db3d7, v57
	v_fmac_f32_e32 v57, 0x3f5db3d7, v63
	s_wait_dscnt 0x0
	v_dual_add_f32 v63, v87, v128 :: v_dual_add_f32 v84, v25, v85
	v_dual_sub_f32 v34, v25, v85 :: v_dual_fmamk_f32 v25, v52, 0x3f5db3d7, v58
	v_fmac_f32_e32 v58, 0xbf5db3d7, v52
	s_delay_alu instid0(VALU_DEP_3) | instskip(NEXT) | instid1(VALU_DEP_4)
	v_dual_add_f32 v52, v86, v85 :: v_dual_add_f32 v85, v88, v63
	v_fma_f32 v26, -0.5, v84, v56
	v_add_f32_e32 v84, v91, v54
	v_sub_f32_e32 v90, v87, v88
	v_dual_add_f32 v86, v55, v91 :: v_dual_add_f32 v53, v93, v62
	v_fmamk_f32 v62, v34, 0x3f5db3d7, v27
	s_delay_alu instid0(VALU_DEP_4) | instskip(SKIP_1) | instid1(VALU_DEP_4)
	v_fma_f32 v55, -0.5, v84, v55
	v_fmac_f32_e32 v27, 0xbf5db3d7, v34
	v_add_f32_e32 v84, v86, v54
	s_delay_alu instid0(VALU_DEP_3) | instskip(SKIP_1) | instid1(VALU_DEP_1)
	v_fmamk_f32 v86, v90, 0xbf5db3d7, v55
	v_dual_fmac_f32 v55, 0x3f5db3d7, v90 :: v_dual_add_f32 v56, v87, v88
	v_fma_f32 v56, -0.5, v56, v128
	s_delay_alu instid0(VALU_DEP_1)
	v_fmamk_f32 v87, v61, 0x3f5db3d7, v56
	v_fmac_f32_e32 v56, 0xbf5db3d7, v61
	v_fmamk_f32 v61, v89, 0xbf5db3d7, v26
	s_clause 0x2
	global_store_b64 v[80:81], v[84:85], off
	global_store_b64 v[82:83], v[55:56], off
	;; [unrolled: 1-line block ×3, first 2 shown]
	v_mad_co_u64_u32 v[54:55], null, s9, v79, v[23:24]
	v_mad_co_u64_u32 v[22:23], null, s9, v76, v[22:23]
	;; [unrolled: 1-line block ×3, first 2 shown]
	v_fmac_f32_e32 v26, 0x3f5db3d7, v89
	s_clause 0x2
	global_store_b64 v[118:119], v[52:53], off
	global_store_b64 v[120:121], v[26:27], off
	;; [unrolled: 1-line block ×3, first 2 shown]
	v_mov_b32_e32 v127, v54
	v_lshlrev_b64_e32 v[26:27], 3, v[134:135]
	v_mov_b32_e32 v52, v22
	v_mov_b32_e32 v22, v56
	global_store_b64 v[124:125], v[59:60], off
	v_lshlrev_b64_e32 v[53:54], 3, v[126:127]
	v_mad_co_u64_u32 v[59:60], null, s8, v77, 0
	v_mad_co_u64_u32 v[22:23], null, s9, v78, v[22:23]
	v_add_co_u32 v26, vcc_lo, v20, v26
	v_lshlrev_b64_e32 v[51:52], 3, v[51:52]
	s_wait_alu 0xfffd
	v_add_co_ci_u32_e32 v27, vcc_lo, v21, v27, vcc_lo
	v_add_co_u32 v53, vcc_lo, v20, v53
	s_wait_alu 0xfffd
	v_add_co_ci_u32_e32 v54, vcc_lo, v21, v54, vcc_lo
	v_add_co_u32 v51, vcc_lo, v20, v51
	v_mov_b32_e32 v56, v22
	s_wait_alu 0xfffd
	v_add_co_ci_u32_e32 v52, vcc_lo, v21, v52, vcc_lo
	s_clause 0x2
	global_store_b64 v[26:27], v[57:58], off
	global_store_b64 v[53:54], v[24:25], off
	;; [unrolled: 1-line block ×3, first 2 shown]
	v_lshlrev_b64_e32 v[23:24], 3, v[55:56]
	v_mov_b32_e32 v22, v60
	v_mad_co_u64_u32 v[47:48], null, s8, v75, 0
	v_mad_co_u64_u32 v[51:52], null, s8, v74, 0
	s_delay_alu instid0(VALU_DEP_3) | instskip(SKIP_4) | instid1(VALU_DEP_4)
	v_mad_co_u64_u32 v[25:26], null, s9, v77, v[22:23]
	v_mad_co_u64_u32 v[26:27], null, s8, v73, 0
	v_add_co_u32 v22, vcc_lo, v20, v23
	s_wait_alu 0xfffd
	v_add_co_ci_u32_e32 v23, vcc_lo, v21, v24, vcc_lo
	v_dual_mov_b32 v60, v25 :: v_dual_mov_b32 v25, v48
	s_delay_alu instid0(VALU_DEP_4) | instskip(SKIP_1) | instid1(VALU_DEP_3)
	v_mov_b32_e32 v24, v27
	v_mul_hi_u32 v27, 0x51eb851f, v72
	v_lshlrev_b64_e32 v[53:54], 3, v[59:60]
	s_delay_alu instid0(VALU_DEP_3) | instskip(SKIP_2) | instid1(VALU_DEP_4)
	v_mad_co_u64_u32 v[55:56], null, s9, v73, v[24:25]
	v_mad_co_u64_u32 v[24:25], null, s9, v75, v[25:26]
	v_mov_b32_e32 v25, v52
	v_add_co_u32 v52, vcc_lo, v20, v53
	s_wait_alu 0xfffd
	v_add_co_ci_u32_e32 v53, vcc_lo, v21, v54, vcc_lo
	s_delay_alu instid0(VALU_DEP_3)
	v_mad_co_u64_u32 v[56:57], null, s9, v74, v[25:26]
	v_lshrrev_b32_e32 v25, 4, v27
	v_mov_b32_e32 v27, v55
	s_clause 0x1
	global_store_b64 v[22:23], v[30:31], off
	global_store_b64 v[52:53], v[49:50], off
	v_mov_b32_e32 v48, v24
	v_mad_u32_u24 v34, 0x64, v25, v72
	v_mov_b32_e32 v52, v56
	v_lshlrev_b64_e32 v[22:23], 3, v[26:27]
	s_delay_alu instid0(VALU_DEP_4) | instskip(NEXT) | instid1(VALU_DEP_4)
	v_lshlrev_b64_e32 v[24:25], 3, v[47:48]
	v_mad_co_u64_u32 v[26:27], null, s8, v34, 0
	s_delay_alu instid0(VALU_DEP_4) | instskip(SKIP_4) | instid1(VALU_DEP_3)
	v_lshlrev_b64_e32 v[30:31], 3, v[51:52]
	v_add_nc_u32_e32 v52, 50, v34
	v_add_co_u32 v22, vcc_lo, v20, v22
	s_wait_alu 0xfffd
	v_add_co_ci_u32_e32 v23, vcc_lo, v21, v23, vcc_lo
	v_mad_co_u64_u32 v[47:48], null, s8, v52, 0
	v_add_co_u32 v24, vcc_lo, v20, v24
	v_add_nc_u32_e32 v54, 0x64, v34
	v_mad_co_u64_u32 v[49:50], null, s9, v34, v[27:28]
	v_mul_hi_u32 v34, 0x51eb851f, v71
	s_wait_alu 0xfffd
	v_add_co_ci_u32_e32 v25, vcc_lo, v21, v25, vcc_lo
	v_add_co_u32 v30, vcc_lo, v20, v30
	v_mov_b32_e32 v27, v48
	s_wait_alu 0xfffd
	v_add_co_ci_u32_e32 v31, vcc_lo, v21, v31, vcc_lo
	s_clause 0x2
	global_store_b64 v[22:23], v[45:46], off
	global_store_b64 v[24:25], v[43:44], off
	;; [unrolled: 1-line block ×3, first 2 shown]
	v_mad_co_u64_u32 v[52:53], null, s9, v52, v[27:28]
	v_lshrrev_b32_e32 v28, 4, v34
	v_mad_co_u64_u32 v[50:51], null, s8, v54, 0
	v_mov_b32_e32 v27, v49
	s_delay_alu instid0(VALU_DEP_3) | instskip(SKIP_1) | instid1(VALU_DEP_3)
	v_mad_u32_u24 v34, 0x64, v28, v71
	v_mov_b32_e32 v48, v52
	v_lshlrev_b64_e32 v[23:24], 3, v[26:27]
	s_delay_alu instid0(VALU_DEP_3) | instskip(SKIP_1) | instid1(VALU_DEP_2)
	v_dual_mov_b32 v22, v51 :: v_dual_add_nc_u32 v49, 50, v34
	v_mad_co_u64_u32 v[28:29], null, s8, v34, 0
	v_mad_co_u64_u32 v[25:26], null, s9, v54, v[22:23]
	v_lshlrev_b64_e32 v[26:27], 3, v[47:48]
	s_delay_alu instid0(VALU_DEP_4) | instskip(SKIP_3) | instid1(VALU_DEP_4)
	v_mad_co_u64_u32 v[30:31], null, s8, v49, 0
	v_add_co_u32 v22, vcc_lo, v20, v23
	s_wait_alu 0xfffd
	v_add_co_ci_u32_e32 v23, vcc_lo, v21, v24, vcc_lo
	v_add_co_u32 v24, vcc_lo, v20, v26
	v_mov_b32_e32 v51, v25
	s_wait_alu 0xfffd
	v_add_co_ci_u32_e32 v25, vcc_lo, v21, v27, vcc_lo
	v_dual_mov_b32 v26, v29 :: v_dual_mov_b32 v27, v31
	v_add_nc_u32_e32 v48, 0x64, v34
	s_clause 0x1
	global_store_b64 v[22:23], v[39:40], off
	global_store_b64 v[24:25], v[37:38], off
	v_lshlrev_b64_e32 v[43:44], 3, v[50:51]
	v_mad_co_u64_u32 v[45:46], null, s9, v34, v[26:27]
	v_mad_co_u64_u32 v[46:47], null, s8, v48, 0
	;; [unrolled: 1-line block ×3, first 2 shown]
	s_delay_alu instid0(VALU_DEP_4) | instskip(NEXT) | instid1(VALU_DEP_4)
	v_add_co_u32 v43, vcc_lo, v20, v43
	v_mov_b32_e32 v29, v45
	s_wait_alu 0xfffd
	v_add_co_ci_u32_e32 v44, vcc_lo, v21, v44, vcc_lo
	s_delay_alu instid0(VALU_DEP_4) | instskip(NEXT) | instid1(VALU_DEP_3)
	v_dual_mov_b32 v22, v47 :: v_dual_mov_b32 v31, v26
	v_lshlrev_b64_e32 v[23:24], 3, v[28:29]
	global_store_b64 v[43:44], v[41:42], off
	v_lshlrev_b64_e32 v[28:29], 3, v[30:31]
	v_mad_co_u64_u32 v[30:31], null, s8, v69, 0
	v_mad_co_u64_u32 v[25:26], null, s9, v48, v[22:23]
	v_add_co_u32 v22, vcc_lo, v20, v23
	v_mad_co_u64_u32 v[26:27], null, s8, v68, 0
	s_wait_alu 0xfffd
	v_add_co_ci_u32_e32 v23, vcc_lo, v21, v24, vcc_lo
	s_delay_alu instid0(VALU_DEP_4)
	v_mov_b32_e32 v47, v25
	v_mad_co_u64_u32 v[24:25], null, s8, v70, 0
	v_add_co_u32 v28, vcc_lo, v20, v28
	s_wait_alu 0xfffd
	v_add_co_ci_u32_e32 v29, vcc_lo, v21, v29, vcc_lo
	v_lshlrev_b64_e32 v[37:38], 3, v[46:47]
	s_delay_alu instid0(VALU_DEP_3)
	v_mad_co_u64_u32 v[39:40], null, s9, v68, v[27:28]
	v_mad_co_u64_u32 v[40:41], null, s9, v70, v[25:26]
	v_mov_b32_e32 v25, v31
	s_clause 0x1
	global_store_b64 v[22:23], v[35:36], off
	global_store_b64 v[28:29], v[14:15], off
	v_add_co_u32 v37, vcc_lo, v20, v37
	v_mov_b32_e32 v27, v39
	v_mad_co_u64_u32 v[41:42], null, s9, v69, v[25:26]
	v_mad_co_u64_u32 v[42:43], null, s8, v65, 0
	v_mov_b32_e32 v25, v40
	s_delay_alu instid0(VALU_DEP_4)
	v_lshlrev_b64_e32 v[14:15], 3, v[26:27]
	s_wait_alu 0xfffd
	v_add_co_ci_u32_e32 v38, vcc_lo, v21, v38, vcc_lo
	v_mov_b32_e32 v31, v41
	v_lshlrev_b64_e32 v[22:23], 3, v[24:25]
	v_mov_b32_e32 v24, v43
	v_add_co_u32 v14, vcc_lo, v20, v14
	s_delay_alu instid0(VALU_DEP_4)
	v_lshlrev_b64_e32 v[25:26], 3, v[30:31]
	s_wait_alu 0xfffd
	v_add_co_ci_u32_e32 v15, vcc_lo, v21, v15, vcc_lo
	v_add_co_u32 v22, vcc_lo, v20, v22
	s_wait_alu 0xfffd
	v_add_co_ci_u32_e32 v23, vcc_lo, v21, v23, vcc_lo
	v_mad_co_u64_u32 v[27:28], null, s9, v65, v[24:25]
	v_mul_hi_u32 v28, 0x51eb851f, v64
	v_add_co_u32 v24, vcc_lo, v20, v25
	s_wait_alu 0xfffd
	v_add_co_ci_u32_e32 v25, vcc_lo, v21, v26, vcc_lo
	global_store_b64 v[37:38], v[32:33], off
	v_mov_b32_e32 v43, v27
	v_mad_co_u64_u32 v[26:27], null, s8, v67, 0
	v_lshrrev_b32_e32 v28, 4, v28
	s_clause 0x2
	global_store_b64 v[14:15], v[18:19], off
	global_store_b64 v[22:23], v[10:11], off
	;; [unrolled: 1-line block ×3, first 2 shown]
	v_mad_co_u64_u32 v[12:13], null, s8, v66, 0
	v_lshlrev_b64_e32 v[10:11], 3, v[42:43]
	v_mad_u32_u24 v25, 0x64, v28, v64
	v_mov_b32_e32 v14, v27
	s_delay_alu instid0(VALU_DEP_2) | instskip(NEXT) | instid1(VALU_DEP_2)
	v_mad_co_u64_u32 v[18:19], null, s8, v25, 0
	v_mad_co_u64_u32 v[14:15], null, s9, v67, v[14:15]
	v_add_nc_u32_e32 v30, 50, v25
	v_add_co_u32 v10, vcc_lo, v20, v10
	v_add_nc_u32_e32 v31, 0x64, v25
	s_wait_alu 0xfffd
	v_add_co_ci_u32_e32 v11, vcc_lo, v21, v11, vcc_lo
	v_mad_co_u64_u32 v[22:23], null, s9, v66, v[13:14]
	v_mad_co_u64_u32 v[23:24], null, s8, v30, 0
	v_mov_b32_e32 v13, v19
	v_mov_b32_e32 v27, v14
	global_store_b64 v[10:11], v[16:17], off
	v_mad_co_u64_u32 v[28:29], null, s9, v25, v[13:14]
	v_mad_co_u64_u32 v[14:15], null, s8, v31, 0
	v_dual_mov_b32 v10, v24 :: v_dual_mov_b32 v13, v22
	v_lshlrev_b64_e32 v[16:17], 3, v[26:27]
	s_delay_alu instid0(VALU_DEP_4) | instskip(NEXT) | instid1(VALU_DEP_3)
	v_mov_b32_e32 v19, v28
	v_mad_co_u64_u32 v[10:11], null, s9, v30, v[10:11]
	s_delay_alu instid0(VALU_DEP_4) | instskip(SKIP_4) | instid1(VALU_DEP_3)
	v_lshlrev_b64_e32 v[12:13], 3, v[12:13]
	v_mov_b32_e32 v11, v15
	v_add_co_u32 v16, vcc_lo, v20, v16
	s_wait_alu 0xfffd
	v_add_co_ci_u32_e32 v17, vcc_lo, v21, v17, vcc_lo
	v_mad_co_u64_u32 v[25:26], null, s9, v31, v[11:12]
	v_mov_b32_e32 v24, v10
	v_lshlrev_b64_e32 v[18:19], 3, v[18:19]
	v_add_co_u32 v10, vcc_lo, v20, v12
	s_wait_alu 0xfffd
	v_add_co_ci_u32_e32 v11, vcc_lo, v21, v13, vcc_lo
	v_mov_b32_e32 v15, v25
	v_lshlrev_b64_e32 v[12:13], 3, v[23:24]
	v_add_co_u32 v18, vcc_lo, v20, v18
	s_wait_alu 0xfffd
	v_add_co_ci_u32_e32 v19, vcc_lo, v21, v19, vcc_lo
	v_lshlrev_b64_e32 v[14:15], 3, v[14:15]
	s_delay_alu instid0(VALU_DEP_4) | instskip(SKIP_2) | instid1(VALU_DEP_3)
	v_add_co_u32 v12, vcc_lo, v20, v12
	s_wait_alu 0xfffd
	v_add_co_ci_u32_e32 v13, vcc_lo, v21, v13, vcc_lo
	v_add_co_u32 v14, vcc_lo, v20, v14
	s_wait_alu 0xfffd
	v_add_co_ci_u32_e32 v15, vcc_lo, v21, v15, vcc_lo
	s_clause 0x4
	global_store_b64 v[16:17], v[6:7], off
	global_store_b64 v[10:11], v[8:9], off
	;; [unrolled: 1-line block ×5, first 2 shown]
.LBB0_14:
	s_nop 0
	s_sendmsg sendmsg(MSG_DEALLOC_VGPRS)
	s_endpgm
	.section	.rodata,"a",@progbits
	.p2align	6, 0x0
	.amdhsa_kernel fft_rtc_fwd_len150_factors_10_5_3_wgs_60_tpt_5_halfLds_sp_ip_CI_sbrr_dirReg
		.amdhsa_group_segment_fixed_size 0
		.amdhsa_private_segment_fixed_size 0
		.amdhsa_kernarg_size 88
		.amdhsa_user_sgpr_count 2
		.amdhsa_user_sgpr_dispatch_ptr 0
		.amdhsa_user_sgpr_queue_ptr 0
		.amdhsa_user_sgpr_kernarg_segment_ptr 1
		.amdhsa_user_sgpr_dispatch_id 0
		.amdhsa_user_sgpr_private_segment_size 0
		.amdhsa_wavefront_size32 1
		.amdhsa_uses_dynamic_stack 0
		.amdhsa_enable_private_segment 0
		.amdhsa_system_sgpr_workgroup_id_x 1
		.amdhsa_system_sgpr_workgroup_id_y 0
		.amdhsa_system_sgpr_workgroup_id_z 0
		.amdhsa_system_sgpr_workgroup_info 0
		.amdhsa_system_vgpr_workitem_id 0
		.amdhsa_next_free_vgpr 148
		.amdhsa_next_free_sgpr 35
		.amdhsa_reserve_vcc 1
		.amdhsa_float_round_mode_32 0
		.amdhsa_float_round_mode_16_64 0
		.amdhsa_float_denorm_mode_32 3
		.amdhsa_float_denorm_mode_16_64 3
		.amdhsa_fp16_overflow 0
		.amdhsa_workgroup_processor_mode 1
		.amdhsa_memory_ordered 1
		.amdhsa_forward_progress 0
		.amdhsa_round_robin_scheduling 0
		.amdhsa_exception_fp_ieee_invalid_op 0
		.amdhsa_exception_fp_denorm_src 0
		.amdhsa_exception_fp_ieee_div_zero 0
		.amdhsa_exception_fp_ieee_overflow 0
		.amdhsa_exception_fp_ieee_underflow 0
		.amdhsa_exception_fp_ieee_inexact 0
		.amdhsa_exception_int_div_zero 0
	.end_amdhsa_kernel
	.text
.Lfunc_end0:
	.size	fft_rtc_fwd_len150_factors_10_5_3_wgs_60_tpt_5_halfLds_sp_ip_CI_sbrr_dirReg, .Lfunc_end0-fft_rtc_fwd_len150_factors_10_5_3_wgs_60_tpt_5_halfLds_sp_ip_CI_sbrr_dirReg
                                        ; -- End function
	.section	.AMDGPU.csdata,"",@progbits
; Kernel info:
; codeLenInByte = 14376
; NumSgprs: 37
; NumVgprs: 148
; ScratchSize: 0
; MemoryBound: 0
; FloatMode: 240
; IeeeMode: 1
; LDSByteSize: 0 bytes/workgroup (compile time only)
; SGPRBlocks: 4
; VGPRBlocks: 18
; NumSGPRsForWavesPerEU: 37
; NumVGPRsForWavesPerEU: 148
; Occupancy: 9
; WaveLimiterHint : 1
; COMPUTE_PGM_RSRC2:SCRATCH_EN: 0
; COMPUTE_PGM_RSRC2:USER_SGPR: 2
; COMPUTE_PGM_RSRC2:TRAP_HANDLER: 0
; COMPUTE_PGM_RSRC2:TGID_X_EN: 1
; COMPUTE_PGM_RSRC2:TGID_Y_EN: 0
; COMPUTE_PGM_RSRC2:TGID_Z_EN: 0
; COMPUTE_PGM_RSRC2:TIDIG_COMP_CNT: 0
	.text
	.p2alignl 7, 3214868480
	.fill 96, 4, 3214868480
	.type	__hip_cuid_68358968aad19a8b,@object ; @__hip_cuid_68358968aad19a8b
	.section	.bss,"aw",@nobits
	.globl	__hip_cuid_68358968aad19a8b
__hip_cuid_68358968aad19a8b:
	.byte	0                               ; 0x0
	.size	__hip_cuid_68358968aad19a8b, 1

	.ident	"AMD clang version 19.0.0git (https://github.com/RadeonOpenCompute/llvm-project roc-6.4.0 25133 c7fe45cf4b819c5991fe208aaa96edf142730f1d)"
	.section	".note.GNU-stack","",@progbits
	.addrsig
	.addrsig_sym __hip_cuid_68358968aad19a8b
	.amdgpu_metadata
---
amdhsa.kernels:
  - .args:
      - .actual_access:  read_only
        .address_space:  global
        .offset:         0
        .size:           8
        .value_kind:     global_buffer
      - .offset:         8
        .size:           8
        .value_kind:     by_value
      - .actual_access:  read_only
        .address_space:  global
        .offset:         16
        .size:           8
        .value_kind:     global_buffer
      - .actual_access:  read_only
        .address_space:  global
        .offset:         24
        .size:           8
        .value_kind:     global_buffer
      - .offset:         32
        .size:           8
        .value_kind:     by_value
      - .actual_access:  read_only
        .address_space:  global
        .offset:         40
        .size:           8
        .value_kind:     global_buffer
      - .actual_access:  read_only
        .address_space:  global
        .offset:         48
        .size:           8
        .value_kind:     global_buffer
      - .offset:         56
        .size:           4
        .value_kind:     by_value
      - .actual_access:  read_only
        .address_space:  global
        .offset:         64
        .size:           8
        .value_kind:     global_buffer
      - .actual_access:  read_only
        .address_space:  global
        .offset:         72
        .size:           8
        .value_kind:     global_buffer
      - .address_space:  global
        .offset:         80
        .size:           8
        .value_kind:     global_buffer
    .group_segment_fixed_size: 0
    .kernarg_segment_align: 8
    .kernarg_segment_size: 88
    .language:       OpenCL C
    .language_version:
      - 2
      - 0
    .max_flat_workgroup_size: 60
    .name:           fft_rtc_fwd_len150_factors_10_5_3_wgs_60_tpt_5_halfLds_sp_ip_CI_sbrr_dirReg
    .private_segment_fixed_size: 0
    .sgpr_count:     37
    .sgpr_spill_count: 0
    .symbol:         fft_rtc_fwd_len150_factors_10_5_3_wgs_60_tpt_5_halfLds_sp_ip_CI_sbrr_dirReg.kd
    .uniform_work_group_size: 1
    .uses_dynamic_stack: false
    .vgpr_count:     148
    .vgpr_spill_count: 0
    .wavefront_size: 32
    .workgroup_processor_mode: 1
amdhsa.target:   amdgcn-amd-amdhsa--gfx1201
amdhsa.version:
  - 1
  - 2
...

	.end_amdgpu_metadata
